;; amdgpu-corpus repo=ROCm/rocFFT kind=compiled arch=gfx1201 opt=O3
	.text
	.amdgcn_target "amdgcn-amd-amdhsa--gfx1201"
	.amdhsa_code_object_version 6
	.protected	bluestein_single_fwd_len1620_dim1_dp_op_CI_CI ; -- Begin function bluestein_single_fwd_len1620_dim1_dp_op_CI_CI
	.globl	bluestein_single_fwd_len1620_dim1_dp_op_CI_CI
	.p2align	8
	.type	bluestein_single_fwd_len1620_dim1_dp_op_CI_CI,@function
bluestein_single_fwd_len1620_dim1_dp_op_CI_CI: ; @bluestein_single_fwd_len1620_dim1_dp_op_CI_CI
; %bb.0:
	s_load_b128 s[16:19], s[0:1], 0x28
	v_mul_u32_u24_e32 v1, 0x195, v0
	s_mov_b32 s2, exec_lo
	v_mov_b32_e32 v5, 0
	s_delay_alu instid0(VALU_DEP_2) | instskip(NEXT) | instid1(VALU_DEP_1)
	v_lshrrev_b32_e32 v1, 16, v1
	v_add_nc_u32_e32 v4, ttmp9, v1
	s_wait_kmcnt 0x0
	s_delay_alu instid0(VALU_DEP_1)
	v_cmpx_gt_u64_e64 s[16:17], v[4:5]
	s_cbranch_execz .LBB0_34
; %bb.1:
	s_clause 0x1
	s_load_b128 s[4:7], s[0:1], 0x18
	s_load_b128 s[8:11], s[0:1], 0x0
	v_mul_lo_u16 v1, 0xa2, v1
	s_mov_b32 s16, 0x4755a5e
	s_mov_b32 s17, 0x3fe2cf23
	;; [unrolled: 1-line block ×4, first 2 shown]
	v_sub_nc_u16 v40, v0, v1
	s_delay_alu instid0(VALU_DEP_1) | instskip(NEXT) | instid1(VALU_DEP_1)
	v_and_b32_e32 v225, 0xffff, v40
	v_dual_mov_b32 v5, v4 :: v_dual_lshlrev_b32 v226, 4, v225
	scratch_store_b64 off, v[5:6], off      ; 8-byte Folded Spill
	s_wait_kmcnt 0x0
	s_load_b128 s[12:15], s[4:5], 0x0
	s_wait_kmcnt 0x0
	v_mad_co_u64_u32 v[0:1], null, s14, v4, 0
	v_mad_co_u64_u32 v[2:3], null, s12, v225, 0
	s_mul_u64 s[2:3], s[12:13], 0xa20
	s_mov_b32 s14, s16
	s_delay_alu instid0(VALU_DEP_1) | instskip(SKIP_1) | instid1(VALU_DEP_1)
	v_mad_co_u64_u32 v[4:5], null, s15, v4, v[1:2]
	s_mov_b32 s15, 0xbfe2cf23
	v_mad_co_u64_u32 v[5:6], null, s13, v225, v[3:4]
	v_mov_b32_e32 v1, v4
	s_mov_b32 s12, 0x134454ff
	s_mov_b32 s13, 0x3fee6f0e
	s_delay_alu instid0(VALU_DEP_1) | instskip(NEXT) | instid1(VALU_DEP_3)
	v_lshlrev_b64_e32 v[0:1], 4, v[0:1]
	v_mov_b32_e32 v3, v5
	s_delay_alu instid0(VALU_DEP_2) | instskip(NEXT) | instid1(VALU_DEP_2)
	v_add_co_u32 v0, vcc_lo, s18, v0
	v_lshlrev_b64_e32 v[8:9], 4, v[2:3]
	s_delay_alu instid0(VALU_DEP_4)
	v_add_co_ci_u32_e32 v1, vcc_lo, s19, v1, vcc_lo
	s_clause 0x1
	global_load_b128 v[2:5], v226, s[8:9]
	global_load_b128 v[10:13], v226, s[8:9] offset:2592
	s_mov_b32 s18, 0x372fe950
	s_mov_b32 s19, 0x3fd3c6ef
	v_add_co_u32 v32, vcc_lo, v0, v8
	s_wait_alu 0xfffd
	v_add_co_ci_u32_e32 v33, vcc_lo, v1, v9, vcc_lo
	s_clause 0x1
	global_load_b128 v[6:9], v226, s[8:9] offset:5184
	global_load_b128 v[14:17], v226, s[8:9] offset:7776
	v_add_co_u32 v34, vcc_lo, v32, s2
	s_wait_alu 0xfffd
	v_add_co_ci_u32_e32 v35, vcc_lo, s3, v33, vcc_lo
	s_clause 0x1
	global_load_b128 v[18:21], v226, s[8:9] offset:10368
	global_load_b128 v[22:25], v226, s[8:9] offset:12960
	;; [unrolled: 6-line block ×3, first 2 shown]
	v_add_co_u32 v38, vcc_lo, v36, s2
	s_wait_alu 0xfffd
	v_add_co_ci_u32_e32 v39, vcc_lo, s3, v37, vcc_lo
	s_clause 0x1
	global_load_b128 v[41:44], v[32:33], off
	global_load_b128 v[45:48], v[34:35], off
	v_add_co_u32 v57, vcc_lo, v38, s2
	s_wait_alu 0xfffd
	v_add_co_ci_u32_e32 v58, vcc_lo, s3, v39, vcc_lo
	s_clause 0x1
	global_load_b128 v[49:52], v[36:37], off
	global_load_b128 v[53:56], v[38:39], off
	v_add_co_u32 v32, vcc_lo, v57, s2
	s_wait_alu 0xfffd
	v_add_co_ci_u32_e32 v33, vcc_lo, s3, v58, vcc_lo
	global_load_b128 v[57:60], v[57:58], off
	v_add_co_u32 v34, vcc_lo, v32, s2
	s_wait_alu 0xfffd
	v_add_co_ci_u32_e32 v35, vcc_lo, s3, v33, vcc_lo
	global_load_b128 v[61:64], v[32:33], off
	v_add_co_u32 v36, vcc_lo, v34, s2
	s_wait_alu 0xfffd
	v_add_co_ci_u32_e32 v37, vcc_lo, s3, v35, vcc_lo
	global_load_b128 v[65:68], v[34:35], off
	v_add_co_u32 v32, vcc_lo, v36, s2
	s_wait_alu 0xfffd
	v_add_co_ci_u32_e32 v33, vcc_lo, s3, v37, vcc_lo
	v_mul_lo_u16 v0, v40, 10
	s_delay_alu instid0(VALU_DEP_3) | instskip(SKIP_1) | instid1(VALU_DEP_3)
	v_add_co_u32 v77, vcc_lo, v32, s2
	s_wait_alu 0xfffd
	v_add_co_ci_u32_e32 v78, vcc_lo, s3, v33, vcc_lo
	global_load_b128 v[69:72], v[36:37], off
	global_load_b128 v[73:76], v[32:33], off
	s_clause 0x1
	global_load_b128 v[32:35], v226, s[8:9] offset:20736
	global_load_b128 v[36:39], v226, s[8:9] offset:23328
	global_load_b128 v[77:80], v[77:78], off
	s_load_b128 s[4:7], s[6:7], 0x0
	s_mov_b32 s3, 0xbfee6f0e
	s_mov_b32 s2, s12
	v_and_b32_e32 v0, 0xffff, v0
	v_cmp_gt_u16_e32 vcc_lo, 54, v40
	s_delay_alu instid0(VALU_DEP_2)
	v_lshlrev_b32_e32 v206, 4, v0
	s_wait_loadcnt 0x13
	scratch_store_b128 off, v[2:5], off offset:8 ; 16-byte Folded Spill
	s_wait_loadcnt 0x12
	scratch_store_b128 off, v[10:13], off offset:24 ; 16-byte Folded Spill
	;; [unrolled: 2-line block ×7, first 2 shown]
	s_wait_loadcnt 0xb
	v_mul_f64_e32 v[81:82], v[43:44], v[4:5]
	v_mul_f64_e32 v[83:84], v[41:42], v[4:5]
	s_wait_loadcnt 0xa
	v_mul_f64_e32 v[85:86], v[47:48], v[12:13]
	v_mul_f64_e32 v[87:88], v[45:46], v[12:13]
	;; [unrolled: 3-line block ×10, first 2 shown]
	v_fma_f64 v[41:42], v[41:42], v[2:3], v[81:82]
	v_fma_f64 v[43:44], v[43:44], v[2:3], -v[83:84]
	v_fma_f64 v[45:46], v[45:46], v[10:11], v[85:86]
	v_fma_f64 v[47:48], v[47:48], v[10:11], -v[87:88]
	;; [unrolled: 2-line block ×10, first 2 shown]
	ds_store_b128 v226, v[41:44]
	ds_store_b128 v226, v[45:48] offset:2592
	ds_store_b128 v226, v[49:52] offset:5184
	;; [unrolled: 1-line block ×9, first 2 shown]
	global_wb scope:SCOPE_SE
	s_wait_storecnt_dscnt 0x0
	s_wait_kmcnt 0x0
	s_barrier_signal -1
	s_barrier_wait -1
	global_inv scope:SCOPE_SE
	ds_load_b128 v[41:44], v226 offset:7776
	ds_load_b128 v[45:48], v226 offset:12960
	;; [unrolled: 1-line block ×5, first 2 shown]
	s_wait_dscnt 0x3
	v_add_f64_e64 v[105:106], v[41:42], -v[45:46]
	s_wait_dscnt 0x2
	v_add_f64_e32 v[61:62], v[45:46], v[49:50]
	s_wait_dscnt 0x1
	v_add_f64_e32 v[63:64], v[43:44], v[55:56]
	v_add_f64_e32 v[65:66], v[41:42], v[53:54]
	v_add_f64_e32 v[73:74], v[47:48], v[51:52]
	v_add_f64_e64 v[81:82], v[43:44], -v[55:56]
	v_add_f64_e64 v[83:84], v[47:48], -v[51:52]
	;; [unrolled: 1-line block ×11, first 2 shown]
	s_wait_dscnt 0x0
	v_add_f64_e32 v[41:42], v[57:58], v[41:42]
	v_add_f64_e32 v[43:44], v[59:60], v[43:44]
	v_fma_f64 v[87:88], v[61:62], -0.5, v[57:58]
	v_fma_f64 v[89:90], v[63:64], -0.5, v[59:60]
	;; [unrolled: 1-line block ×4, first 2 shown]
	ds_load_b128 v[61:64], v226 offset:5184
	ds_load_b128 v[65:68], v226 offset:10368
	;; [unrolled: 1-line block ×4, first 2 shown]
	ds_load_b128 v[77:80], v226
	global_wb scope:SCOPE_SE
	s_wait_dscnt 0x0
	s_barrier_signal -1
	s_barrier_wait -1
	global_inv scope:SCOPE_SE
	v_add_f64_e32 v[41:42], v[41:42], v[45:46]
	v_add_f64_e32 v[43:44], v[43:44], v[47:48]
	;; [unrolled: 1-line block ×8, first 2 shown]
	v_add_f64_e64 v[131:132], v[63:64], -v[75:76]
	v_add_f64_e64 v[133:134], v[67:68], -v[71:72]
	;; [unrolled: 1-line block ×4, first 2 shown]
	v_fma_f64 v[119:120], v[81:82], s[12:13], v[87:88]
	v_fma_f64 v[121:122], v[85:86], s[12:13], v[89:90]
	;; [unrolled: 1-line block ×3, first 2 shown]
	s_wait_alu 0xfffe
	v_fma_f64 v[91:92], v[83:84], s[2:3], v[91:92]
	v_fma_f64 v[87:88], v[81:82], s[2:3], v[87:88]
	;; [unrolled: 1-line block ×5, first 2 shown]
	v_add_f64_e32 v[41:42], v[41:42], v[49:50]
	v_add_f64_e32 v[43:44], v[43:44], v[51:52]
	v_fma_f64 v[57:58], v[97:98], -0.5, v[77:78]
	v_fma_f64 v[77:78], v[99:100], -0.5, v[77:78]
	;; [unrolled: 1-line block ×4, first 2 shown]
	v_add_f64_e32 v[99:100], v[105:106], v[107:108]
	v_add_f64_e32 v[101:102], v[109:110], v[111:112]
	;; [unrolled: 1-line block ×3, first 2 shown]
	v_add_f64_e64 v[115:116], v[63:64], -v[67:68]
	v_add_f64_e64 v[63:64], v[67:68], -v[63:64]
	v_add_f64_e32 v[67:68], v[135:136], v[67:68]
	v_add_f64_e64 v[111:112], v[73:74], -v[69:70]
	v_add_f64_e64 v[113:114], v[69:70], -v[73:74]
	v_fma_f64 v[105:106], v[83:84], s[16:17], v[119:120]
	v_fma_f64 v[107:108], v[93:94], s[14:15], v[121:122]
	;; [unrolled: 1-line block ×6, first 2 shown]
	v_add_f64_e32 v[87:88], v[117:118], v[125:126]
	v_fma_f64 v[91:92], v[85:86], s[16:17], v[127:128]
	v_add_f64_e64 v[93:94], v[61:62], -v[65:66]
	v_add_f64_e64 v[61:62], v[65:66], -v[61:62]
	v_add_f64_e32 v[65:66], v[129:130], v[65:66]
	v_add_f64_e64 v[117:118], v[75:76], -v[71:72]
	v_add_f64_e64 v[119:120], v[71:72], -v[75:76]
	v_fma_f64 v[85:86], v[85:86], s[14:15], v[95:96]
	v_add_f64_e32 v[53:54], v[41:42], v[53:54]
	v_add_f64_e32 v[55:56], v[43:44], v[55:56]
	v_fma_f64 v[45:46], v[131:132], s[12:13], v[57:58]
	v_fma_f64 v[47:48], v[131:132], s[2:3], v[57:58]
	;; [unrolled: 1-line block ×8, first 2 shown]
	v_add_f64_e32 v[67:68], v[67:68], v[71:72]
	v_fma_f64 v[95:96], v[99:100], s[18:19], v[105:106]
	v_fma_f64 v[105:106], v[103:104], s[18:19], v[107:108]
	;; [unrolled: 1-line block ×7, first 2 shown]
	v_add_f64_e32 v[93:94], v[93:94], v[111:112]
	v_add_f64_e32 v[61:62], v[61:62], v[113:114]
	;; [unrolled: 1-line block ×5, first 2 shown]
	v_fma_f64 v[45:46], v[133:134], s[16:17], v[45:46]
	v_fma_f64 v[47:48], v[133:134], s[14:15], v[47:48]
	;; [unrolled: 1-line block ×9, first 2 shown]
	v_add_f64_e32 v[67:68], v[67:68], v[75:76]
	v_mul_f64_e32 v[79:80], s[20:21], v[95:96]
	v_mul_f64_e32 v[85:86], s[12:13], v[105:106]
	;; [unrolled: 1-line block ×8, first 2 shown]
	v_add_f64_e32 v[65:66], v[65:66], v[73:74]
	v_fma_f64 v[73:74], v[93:94], s[18:19], v[45:46]
	v_fma_f64 v[93:94], v[93:94], s[18:19], v[47:48]
	v_fma_f64 v[75:76], v[61:62], s[18:19], v[49:50]
	v_fma_f64 v[111:112], v[61:62], s[18:19], v[51:52]
	v_fma_f64 v[113:114], v[99:100], s[18:19], v[57:58]
	v_fma_f64 v[115:116], v[63:64], s[18:19], v[71:72]
	v_fma_f64 v[69:70], v[63:64], s[18:19], v[69:70]
	v_fma_f64 v[99:100], v[99:100], s[18:19], v[59:60]
	v_add_f64_e32 v[43:44], v[67:68], v[55:56]
	v_add_f64_e64 v[47:48], v[67:68], -v[55:56]
	v_fma_f64 v[71:72], v[77:78], s[16:17], v[79:80]
	v_fma_f64 v[79:80], v[81:82], s[18:19], v[85:86]
	v_fma_f64 v[81:82], v[89:90], s[12:13], -v[87:88]
	v_fma_f64 v[87:88], v[77:78], s[20:21], v[95:96]
	v_fma_f64 v[89:90], v[105:106], s[18:19], v[101:102]
	v_fma_f64 v[85:86], v[91:92], s[16:17], -v[97:98]
	v_fma_f64 v[91:92], v[107:108], s[2:3], -v[103:104]
	v_fma_f64 v[95:96], v[83:84], s[14:15], -v[109:110]
	s_load_b64 s[2:3], s[0:1], 0x38
	v_add_f64_e32 v[41:42], v[65:66], v[53:54]
	v_add_f64_e64 v[45:46], v[65:66], -v[53:54]
	v_add_f64_e32 v[49:50], v[73:74], v[71:72]
	v_add_f64_e32 v[53:54], v[75:76], v[79:80]
	;; [unrolled: 1-line block ×8, first 2 shown]
	v_add_f64_e64 v[65:66], v[73:74], -v[71:72]
	v_add_f64_e64 v[67:68], v[113:114], -v[87:88]
	;; [unrolled: 1-line block ×8, first 2 shown]
                                        ; implicit-def: $vgpr112_vgpr113
                                        ; implicit-def: $vgpr116_vgpr117
	ds_store_b128 v206, v[41:44]
	ds_store_b128 v206, v[49:52] offset:16
	ds_store_b128 v206, v[53:56] offset:32
	;; [unrolled: 1-line block ×9, first 2 shown]
	global_wb scope:SCOPE_SE
	s_wait_dscnt 0x0
	s_wait_kmcnt 0x0
	s_barrier_signal -1
	s_barrier_wait -1
	global_inv scope:SCOPE_SE
	ds_load_b128 v[80:83], v226
	ds_load_b128 v[76:79], v226 offset:2592
	ds_load_b128 v[100:103], v226 offset:17280
	;; [unrolled: 1-line block ×8, first 2 shown]
	s_and_saveexec_b32 s0, vcc_lo
	s_cbranch_execz .LBB0_3
; %bb.2:
	ds_load_b128 v[72:75], v226 offset:7776
	ds_load_b128 v[112:115], v226 offset:16416
	;; [unrolled: 1-line block ×3, first 2 shown]
.LBB0_3:
	s_wait_alu 0xfffe
	s_or_b32 exec_lo, exec_lo, s0
	v_add_co_u32 v200, s0, 0xa2, v225
	s_wait_alu 0xf1ff
	v_add_co_ci_u32_e64 v201, null, 0, 0, s0
	v_add_co_u32 v202, s0, 0x144, v225
	v_and_b32_e32 v0, 0xff, v225
	s_wait_alu 0xf1ff
	v_add_co_ci_u32_e64 v203, null, 0, 0, s0
	v_and_b32_e32 v192, 0xffff, v200
	v_add_co_u32 v207, s0, 0x1e6, v225
	v_and_b32_e32 v152, 0xffff, v202
	v_mul_lo_u16 v0, 0xcd, v0
	s_delay_alu instid0(VALU_DEP_4) | instskip(NEXT) | instid1(VALU_DEP_4)
	v_mul_u32_u24_e32 v1, 0xcccd, v192
	v_and_b32_e32 v153, 0xffff, v207
	s_wait_alu 0xf1ff
	v_add_co_ci_u32_e64 v208, null, 0, 0, s0
	v_mul_u32_u24_e32 v2, 0xcccd, v152
	v_lshrrev_b32_e32 v1, 19, v1
	v_lshrrev_b16 v0, 11, v0
	v_mul_u32_u24_e32 v3, 0xcccd, v153
	s_mov_b32 s0, 0xe8584caa
	v_lshrrev_b32_e32 v2, 19, v2
	v_mul_lo_u16 v4, v1, 10
	v_mul_lo_u16 v5, v0, 10
	v_lshrrev_b32_e32 v6, 19, v3
	s_mov_b32 s1, 0x3febb67a
	v_mul_lo_u16 v3, v2, 10
	v_sub_nc_u16 v4, v200, v4
	v_sub_nc_u16 v5, v225, v5
	scratch_store_b32 off, v6, off offset:120 ; 4-byte Folded Spill
	v_mul_lo_u16 v6, v6, 10
	v_sub_nc_u16 v3, v202, v3
	v_lshlrev_b16 v7, 1, v4
	v_and_b32_e32 v5, 0xff, v5
	s_mov_b32 s13, 0xbfebb67a
	v_sub_nc_u16 v9, v207, v6
	v_lshlrev_b16 v6, 1, v3
	v_and_b32_e32 v7, 0xffff, v7
	v_lshlrev_b32_e32 v8, 5, v5
	s_wait_alu 0xfffe
	s_mov_b32 s12, s0
	scratch_store_b32 off, v9, off offset:124 ; 4-byte Folded Spill
	v_lshlrev_b16 v9, 1, v9
	v_and_b32_e32 v6, 0xffff, v6
	v_lshlrev_b32_e32 v7, 4, v7
	s_clause 0x3
	global_load_b128 v[52:55], v8, s[10:11]
	global_load_b128 v[48:51], v8, s[10:11] offset:16
	global_load_b128 v[60:63], v7, s[10:11]
	global_load_b128 v[56:59], v7, s[10:11] offset:16
	v_and_b32_e32 v8, 0xffff, v9
	v_lshlrev_b32_e32 v6, 4, v6
	v_and_b32_e32 v0, 0xffff, v0
	v_mad_u16 v1, v1, 30, v4
	v_mad_u16 v2, v2, 30, v3
	v_lshlrev_b32_e32 v7, 4, v8
	s_clause 0x3
	global_load_b128 v[44:47], v6, s[10:11]
	global_load_b128 v[40:43], v6, s[10:11] offset:16
	global_load_b128 v[68:71], v7, s[10:11]
	global_load_b128 v[64:67], v7, s[10:11] offset:16
	v_mul_u32_u24_e32 v0, 30, v0
	v_and_b32_e32 v1, 0xffff, v1
	v_and_b32_e32 v2, 0xffff, v2
	global_wb scope:SCOPE_SE
	s_wait_storecnt 0x0
	s_wait_loadcnt_dscnt 0x0
	s_barrier_signal -1
	v_add_lshl_u32 v3, v0, v5, 4
	v_lshlrev_b32_e32 v1, 4, v1
	v_lshlrev_b32_e32 v0, 4, v2
	s_barrier_wait -1
	global_inv scope:SCOPE_SE
	v_mul_f64_e32 v[120:121], v[110:111], v[54:55]
	v_mul_f64_e32 v[122:123], v[102:103], v[50:51]
	;; [unrolled: 1-line block ×16, first 2 shown]
	v_fma_f64 v[108:109], v[108:109], v[52:53], -v[120:121]
	v_fma_f64 v[100:101], v[100:101], v[48:49], -v[122:123]
	v_fma_f64 v[110:111], v[110:111], v[52:53], v[124:125]
	v_fma_f64 v[102:103], v[102:103], v[48:49], v[126:127]
	v_fma_f64 v[104:105], v[104:105], v[60:61], -v[128:129]
	v_fma_f64 v[88:89], v[88:89], v[56:57], -v[130:131]
	v_fma_f64 v[106:107], v[106:107], v[60:61], v[132:133]
	v_fma_f64 v[90:91], v[90:91], v[56:57], v[134:135]
	;; [unrolled: 4-line block ×4, first 2 shown]
	v_add_f64_e32 v[136:137], v[80:81], v[108:109]
	v_add_f64_e32 v[120:121], v[108:109], v[100:101]
	v_add_f64_e64 v[108:109], v[108:109], -v[100:101]
	v_add_f64_e32 v[122:123], v[110:111], v[102:103]
	v_add_f64_e64 v[138:139], v[110:111], -v[102:103]
	v_add_f64_e32 v[124:125], v[104:105], v[88:89]
	v_add_f64_e32 v[110:111], v[82:83], v[110:111]
	;; [unrolled: 1-line block ×5, first 2 shown]
	v_add_f64_e64 v[154:155], v[106:107], -v[90:91]
	v_add_f64_e32 v[144:145], v[84:85], v[92:93]
	v_add_f64_e32 v[128:129], v[92:93], v[96:97]
	;; [unrolled: 1-line block ×8, first 2 shown]
	v_add_f64_e64 v[156:157], v[104:105], -v[88:89]
	v_add_f64_e64 v[158:159], v[94:95], -v[98:99]
	;; [unrolled: 1-line block ×5, first 2 shown]
	v_fma_f64 v[120:121], v[120:121], -0.5, v[80:81]
	v_fma_f64 v[122:123], v[122:123], -0.5, v[82:83]
	;; [unrolled: 1-line block ×4, first 2 shown]
	v_add_f64_e32 v[76:77], v[140:141], v[88:89]
	v_add_f64_e32 v[78:79], v[142:143], v[90:91]
	;; [unrolled: 1-line block ×3, first 2 shown]
	v_fma_f64 v[128:129], v[128:129], -0.5, v[84:85]
	v_add_f64_e32 v[82:83], v[146:147], v[98:99]
	v_fma_f64 v[130:131], v[130:131], -0.5, v[86:87]
	v_add_f64_e32 v[104:105], v[148:149], v[116:117]
	;; [unrolled: 2-line block ×4, first 2 shown]
	v_add_f64_e32 v[106:107], v[150:151], v[118:119]
	v_fma_f64 v[84:85], v[138:139], s[0:1], v[120:121]
	s_wait_alu 0xfffe
	v_fma_f64 v[88:89], v[138:139], s[12:13], v[120:121]
	v_fma_f64 v[86:87], v[108:109], s[12:13], v[122:123]
	;; [unrolled: 1-line block ×7, first 2 shown]
	ds_store_b128 v3, v[72:75]
	ds_store_b128 v3, v[84:87] offset:160
	v_fma_f64 v[108:109], v[158:159], s[12:13], v[128:129]
	v_fma_f64 v[110:111], v[160:161], s[0:1], v[130:131]
	;; [unrolled: 1-line block ×8, first 2 shown]
	scratch_store_b32 off, v3, off offset:136 ; 4-byte Folded Spill
	ds_store_b128 v3, v[88:91] offset:320
	ds_store_b128 v1, v[76:79]
	ds_store_b128 v1, v[92:95] offset:160
	scratch_store_b32 off, v1, off offset:132 ; 4-byte Folded Spill
	ds_store_b128 v1, v[96:99] offset:320
	ds_store_b128 v0, v[80:83]
	ds_store_b128 v0, v[100:103] offset:160
	scratch_store_b32 off, v0, off offset:128 ; 4-byte Folded Spill
	ds_store_b128 v0, v[108:111] offset:320
	s_and_saveexec_b32 s0, vcc_lo
	s_cbranch_execz .LBB0_5
; %bb.4:
	s_clause 0x1
	scratch_load_b32 v0, off, off offset:120
	scratch_load_b32 v1, off, off offset:124
	s_wait_loadcnt 0x0
	v_mad_u16 v0, v0, 30, v1
	s_delay_alu instid0(VALU_DEP_1) | instskip(NEXT) | instid1(VALU_DEP_1)
	v_and_b32_e32 v0, 0xffff, v0
	v_lshlrev_b32_e32 v0, 4, v0
	ds_store_b128 v0, v[104:107]
	ds_store_b128 v0, v[120:123] offset:160
	ds_store_b128 v0, v[124:127] offset:320
.LBB0_5:
	s_wait_alu 0xfffe
	s_or_b32 exec_lo, exec_lo, s0
	global_wb scope:SCOPE_SE
	s_wait_storecnt_dscnt 0x0
	s_barrier_signal -1
	s_barrier_wait -1
	global_inv scope:SCOPE_SE
	ds_load_b128 v[112:115], v226
	ds_load_b128 v[108:111], v226 offset:2592
	ds_load_b128 v[140:143], v226 offset:17280
	;; [unrolled: 1-line block ×8, first 2 shown]
	s_and_saveexec_b32 s0, vcc_lo
	s_cbranch_execz .LBB0_7
; %bb.6:
	ds_load_b128 v[104:107], v226 offset:7776
	ds_load_b128 v[120:123], v226 offset:16416
	;; [unrolled: 1-line block ×3, first 2 shown]
.LBB0_7:
	s_wait_alu 0xfffe
	s_or_b32 exec_lo, exec_lo, s0
	v_mul_u32_u24_e32 v1, 0x8889, v192
	v_mul_u32_u24_e32 v2, 0x8889, v152
	v_and_b32_e32 v0, 0xff, v225
	v_mul_u32_u24_e32 v3, 0x8889, v153
	s_delay_alu instid0(VALU_DEP_4) | instskip(NEXT) | instid1(VALU_DEP_4)
	v_lshrrev_b32_e32 v1, 20, v1
	v_lshrrev_b32_e32 v2, 20, v2
	s_delay_alu instid0(VALU_DEP_4) | instskip(NEXT) | instid1(VALU_DEP_4)
	v_mul_lo_u16 v0, 0x89, v0
	v_lshrrev_b32_e32 v3, 20, v3
	s_delay_alu instid0(VALU_DEP_4) | instskip(NEXT) | instid1(VALU_DEP_4)
	v_mul_lo_u16 v4, v1, 30
	v_mul_lo_u16 v5, v2, 30
	s_delay_alu instid0(VALU_DEP_4) | instskip(NEXT) | instid1(VALU_DEP_4)
	v_lshrrev_b16 v0, 12, v0
	v_mul_lo_u16 v6, v3, 30
	s_delay_alu instid0(VALU_DEP_4) | instskip(NEXT) | instid1(VALU_DEP_4)
	v_sub_nc_u16 v4, v200, v4
	v_sub_nc_u16 v5, v202, v5
	s_delay_alu instid0(VALU_DEP_4) | instskip(NEXT) | instid1(VALU_DEP_4)
	v_mul_lo_u16 v7, v0, 30
	v_sub_nc_u16 v6, v207, v6
	v_and_b32_e32 v0, 0xffff, v0
	v_lshlrev_b16 v8, 5, v4
	v_lshlrev_b16 v9, 5, v5
	v_sub_nc_u16 v7, v225, v7
	v_lshlrev_b16 v10, 5, v6
	v_mad_u16 v1, 0x5a, v1, v4
	v_and_b32_e32 v8, 0xffff, v8
	v_and_b32_e32 v9, 0xffff, v9
	;; [unrolled: 1-line block ×4, first 2 shown]
	v_mad_u16 v2, 0x5a, v2, v5
	v_add_co_u32 v80, s0, s10, v8
	s_wait_alu 0xf1ff
	v_add_co_ci_u32_e64 v81, null, s11, 0, s0
	v_add_co_u32 v82, s0, s10, v9
	v_lshlrev_b32_e32 v11, 5, v7
	s_wait_alu 0xf1ff
	v_add_co_ci_u32_e64 v83, null, s11, 0, s0
	v_add_co_u32 v96, s0, s10, v10
	s_wait_alu 0xf1ff
	v_add_co_ci_u32_e64 v97, null, s11, 0, s0
	s_clause 0x7
	global_load_b128 v[72:75], v11, s[10:11] offset:336
	global_load_b128 v[88:91], v11, s[10:11] offset:320
	global_load_b128 v[76:79], v[80:81], off offset:336
	global_load_b128 v[92:95], v[80:81], off offset:320
	;; [unrolled: 1-line block ×6, first 2 shown]
	s_mov_b32 s0, 0xe8584caa
	s_mov_b32 s1, 0x3febb67a
	s_wait_alu 0xfffe
	s_mov_b32 s12, s0
	v_mul_u32_u24_e32 v0, 0x5a, v0
	v_and_b32_e32 v1, 0xffff, v1
	v_and_b32_e32 v2, 0xffff, v2
	v_mad_u16 v3, 0x5a, v3, v6
	s_delay_alu instid0(VALU_DEP_4) | instskip(NEXT) | instid1(VALU_DEP_4)
	v_add_lshl_u32 v235, v0, v7, 4
	v_lshlrev_b32_e32 v1, 4, v1
	s_delay_alu instid0(VALU_DEP_4)
	v_lshlrev_b32_e32 v0, 4, v2
	scratch_store_b32 off, v3, off offset:140 ; 4-byte Folded Spill
	global_wb scope:SCOPE_SE
	s_wait_storecnt 0x0
	s_wait_loadcnt_dscnt 0x0
	s_barrier_signal -1
	s_barrier_wait -1
	global_inv scope:SCOPE_SE
	v_mul_f64_e32 v[154:155], v[142:143], v[74:75]
	v_mul_f64_e32 v[152:153], v[150:151], v[90:91]
	;; [unrolled: 1-line block ×16, first 2 shown]
	v_fma_f64 v[140:141], v[140:141], v[72:73], -v[154:155]
	v_fma_f64 v[148:149], v[148:149], v[88:89], -v[152:153]
	v_fma_f64 v[150:151], v[150:151], v[88:89], v[156:157]
	v_fma_f64 v[142:143], v[142:143], v[72:73], v[158:159]
	v_fma_f64 v[144:145], v[144:145], v[92:93], -v[160:161]
	v_fma_f64 v[128:129], v[128:129], v[76:77], -v[162:163]
	v_fma_f64 v[146:147], v[146:147], v[92:93], v[164:165]
	v_fma_f64 v[130:131], v[130:131], v[76:77], v[166:167]
	;; [unrolled: 4-line block ×4, first 2 shown]
	v_add_f64_e32 v[152:153], v[148:149], v[140:141]
	v_add_f64_e32 v[168:169], v[112:113], v[148:149]
	v_add_f64_e32 v[154:155], v[150:151], v[142:143]
	v_add_f64_e64 v[170:171], v[150:151], -v[142:143]
	v_add_f64_e32 v[156:157], v[144:145], v[128:129]
	v_add_f64_e32 v[150:151], v[114:115], v[150:151]
	;; [unrolled: 1-line block ×13, first 2 shown]
	v_add_f64_e64 v[148:149], v[148:149], -v[140:141]
	v_add_f64_e64 v[184:185], v[146:147], -v[130:131]
	;; [unrolled: 1-line block ×7, first 2 shown]
	v_fma_f64 v[152:153], v[152:153], -0.5, v[112:113]
	v_fma_f64 v[154:155], v[154:155], -0.5, v[114:115]
	;; [unrolled: 1-line block ×4, first 2 shown]
	v_add_f64_e32 v[108:109], v[172:173], v[128:129]
	v_fma_f64 v[188:189], v[160:161], -0.5, v[116:117]
	v_add_f64_e32 v[110:111], v[174:175], v[130:131]
	v_fma_f64 v[190:191], v[162:163], -0.5, v[118:119]
	;; [unrolled: 2-line block ×4, first 2 shown]
	v_add_f64_e32 v[106:107], v[150:151], v[142:143]
	v_add_f64_e32 v[146:147], v[178:179], v[138:139]
	;; [unrolled: 1-line block ×4, first 2 shown]
	v_fma_f64 v[112:113], v[170:171], s[0:1], v[152:153]
	s_wait_alu 0xfffe
	v_fma_f64 v[116:117], v[170:171], s[12:13], v[152:153]
	v_fma_f64 v[114:115], v[148:149], s[12:13], v[154:155]
	;; [unrolled: 1-line block ×15, first 2 shown]
	ds_store_b128 v235, v[104:107]
	ds_store_b128 v235, v[112:115] offset:480
	ds_store_b128 v235, v[116:119] offset:960
	ds_store_b128 v1, v[108:111]
	ds_store_b128 v1, v[120:123] offset:480
	scratch_store_b32 off, v1, off offset:148 ; 4-byte Folded Spill
	ds_store_b128 v1, v[124:127] offset:960
	ds_store_b128 v0, v[144:147]
	ds_store_b128 v0, v[160:163] offset:480
	scratch_store_b32 off, v0, off offset:144 ; 4-byte Folded Spill
	ds_store_b128 v0, v[148:151] offset:960
	s_and_saveexec_b32 s0, vcc_lo
	s_cbranch_execz .LBB0_9
; %bb.8:
	scratch_load_b32 v0, off, off offset:140 ; 4-byte Folded Reload
	s_wait_loadcnt 0x0
	v_and_b32_e32 v0, 0xffff, v0
	s_delay_alu instid0(VALU_DEP_1)
	v_lshlrev_b32_e32 v0, 4, v0
	ds_store_b128 v0, v[172:175]
	ds_store_b128 v0, v[152:155] offset:480
	ds_store_b128 v0, v[176:179] offset:960
.LBB0_9:
	s_wait_alu 0xfffe
	s_or_b32 exec_lo, exec_lo, s0
	global_wb scope:SCOPE_SE
	s_wait_storecnt_dscnt 0x0
	s_barrier_signal -1
	s_barrier_wait -1
	global_inv scope:SCOPE_SE
	ds_load_b128 v[156:159], v226
	ds_load_b128 v[180:183], v226 offset:4320
	ds_load_b128 v[164:167], v226 offset:8640
	;; [unrolled: 1-line block ×5, first 2 shown]
	v_cmp_gt_u16_e64 s0, 0x6c, v225
	s_delay_alu instid0(VALU_DEP_1)
	s_and_saveexec_b32 s1, s0
	s_cbranch_execz .LBB0_11
; %bb.10:
	ds_load_b128 v[144:147], v226 offset:2592
	ds_load_b128 v[160:163], v226 offset:6912
	;; [unrolled: 1-line block ×6, first 2 shown]
.LBB0_11:
	s_wait_alu 0xfffe
	s_or_b32 exec_lo, exec_lo, s1
	v_mul_u32_u24_e32 v0, 0x2d83, v192
	v_add_nc_u32_e32 v1, 0xffffffa6, v225
	v_cmp_gt_u16_e64 s1, 0x5a, v225
	s_mov_b32 s12, 0xe8584caa
	s_mov_b32 s13, 0x3febb67a
	v_lshrrev_b32_e32 v0, 20, v0
	s_mov_b32 s15, 0xbfebb67a
	s_wait_alu 0xf1ff
	v_cndmask_b32_e64 v1, v1, v225, s1
	s_wait_alu 0xfffe
	s_mov_b32 s14, s12
	v_mul_lo_u16 v2, 0x5a, v0
	s_delay_alu instid0(VALU_DEP_2) | instskip(SKIP_1) | instid1(VALU_DEP_3)
	v_mul_i32_i24_e32 v3, 0x50, v1
	v_mul_hi_i32_i24_e32 v4, 0x50, v1
	v_sub_nc_u16 v2, v200, v2
	s_delay_alu instid0(VALU_DEP_3) | instskip(SKIP_1) | instid1(VALU_DEP_3)
	v_add_co_u32 v108, s1, s10, v3
	s_wait_alu 0xf1ff
	v_add_co_ci_u32_e64 v109, s1, s11, v4, s1
	s_delay_alu instid0(VALU_DEP_3) | instskip(SKIP_4) | instid1(VALU_DEP_1)
	v_mul_lo_u16 v5, 0x50, v2
	s_clause 0x1
	global_load_b128 v[132:135], v[108:109], off offset:1312
	global_load_b128 v[136:139], v[108:109], off offset:1344
	v_and_b32_e32 v3, 0xffff, v5
	v_add_co_u32 v110, s1, s10, v3
	s_wait_alu 0xf1ff
	v_add_co_ci_u32_e64 v111, null, s11, 0, s1
	v_cmp_lt_u16_e64 s1, 0x59, v225
	s_clause 0x7
	global_load_b128 v[128:131], v[110:111], off offset:1312
	global_load_b128 v[140:143], v[110:111], off offset:1344
	;; [unrolled: 1-line block ×8, first 2 shown]
	global_wb scope:SCOPE_SE
	s_wait_loadcnt_dscnt 0x0
	s_wait_alu 0xf1ff
	v_cndmask_b32_e64 v3, 0, 0x21c, s1
	s_barrier_signal -1
	s_barrier_wait -1
	global_inv scope:SCOPE_SE
	v_mul_f64_e32 v[192:193], v[186:187], v[134:135]
	v_mul_f64_e32 v[194:195], v[184:185], v[134:135]
	;; [unrolled: 1-line block ×12, first 2 shown]
	v_fma_f64 v[184:185], v[184:185], v[132:133], -v[192:193]
	v_fma_f64 v[186:187], v[186:187], v[132:133], v[194:195]
	v_fma_f64 v[190:191], v[190:191], v[136:137], v[196:197]
	v_fma_f64 v[188:189], v[188:189], v[136:137], -v[198:199]
	v_mul_f64_e32 v[192:193], v[162:163], v[106:107]
	v_mul_f64_e32 v[194:195], v[160:161], v[106:107]
	v_mul_f64_e32 v[196:197], v[166:167], v[126:127]
	v_mul_f64_e32 v[198:199], v[164:165], v[126:127]
	v_fma_f64 v[172:173], v[172:173], v[128:129], -v[204:205]
	v_fma_f64 v[174:175], v[174:175], v[128:129], v[209:210]
	v_fma_f64 v[178:179], v[178:179], v[140:141], v[211:212]
	v_fma_f64 v[176:177], v[176:177], v[140:141], -v[213:214]
	v_mul_f64_e32 v[204:205], v[170:171], v[122:123]
	v_mul_f64_e32 v[209:210], v[168:169], v[122:123]
	v_fma_f64 v[180:181], v[180:181], v[116:117], -v[215:216]
	v_fma_f64 v[182:183], v[182:183], v[116:117], v[217:218]
	v_mul_f64_e32 v[215:216], v[150:151], v[114:115]
	v_mul_f64_e32 v[217:218], v[148:149], v[114:115]
	v_fma_f64 v[152:153], v[152:153], v[108:109], -v[219:220]
	v_fma_f64 v[154:155], v[154:155], v[108:109], v[221:222]
	v_add_f64_e32 v[211:212], v[186:187], v[190:191]
	v_add_f64_e32 v[213:214], v[184:185], v[188:189]
	v_fma_f64 v[160:161], v[160:161], v[104:105], -v[192:193]
	v_fma_f64 v[162:163], v[162:163], v[104:105], v[194:195]
	v_fma_f64 v[164:165], v[164:165], v[124:125], -v[196:197]
	v_fma_f64 v[166:167], v[166:167], v[124:125], v[198:199]
	v_add_f64_e64 v[196:197], v[186:187], -v[190:191]
	v_add_f64_e64 v[198:199], v[184:185], -v[188:189]
	v_add_f64_e32 v[192:193], v[174:175], v[178:179]
	v_add_f64_e32 v[194:195], v[172:173], v[176:177]
	v_fma_f64 v[168:169], v[168:169], v[120:121], -v[204:205]
	v_fma_f64 v[170:171], v[170:171], v[120:121], v[209:210]
	v_fma_f64 v[148:149], v[148:149], v[112:113], -v[215:216]
	v_fma_f64 v[150:151], v[150:151], v[112:113], v[217:218]
	v_fma_f64 v[204:205], v[211:212], -0.5, v[182:183]
	v_fma_f64 v[209:210], v[213:214], -0.5, v[180:181]
	v_add_f64_e64 v[211:212], v[174:175], -v[178:179]
	v_add_f64_e64 v[213:214], v[172:173], -v[176:177]
	v_add_f64_e32 v[180:181], v[180:181], v[184:185]
	v_add_f64_e32 v[182:183], v[182:183], v[186:187]
	v_fma_f64 v[192:193], v[192:193], -0.5, v[162:163]
	v_fma_f64 v[194:195], v[194:195], -0.5, v[160:161]
	v_add_f64_e32 v[215:216], v[164:165], v[168:169]
	v_add_f64_e32 v[217:218], v[166:167], v[170:171]
	;; [unrolled: 1-line block ×6, first 2 shown]
	v_add_f64_e64 v[172:173], v[150:151], -v[154:155]
	v_add_f64_e64 v[240:241], v[148:149], -v[152:153]
	s_wait_alu 0xfffe
	v_fma_f64 v[219:220], v[198:199], s[14:15], v[204:205]
	v_fma_f64 v[221:222], v[196:197], s[14:15], v[209:210]
	;; [unrolled: 1-line block ×4, first 2 shown]
	v_add_f64_e32 v[204:205], v[148:149], v[152:153]
	v_add_f64_e32 v[209:210], v[150:151], v[154:155]
	;; [unrolled: 1-line block ×4, first 2 shown]
	v_fma_f64 v[236:237], v[213:214], s[14:15], v[192:193]
	v_fma_f64 v[238:239], v[211:212], s[14:15], v[194:195]
	;; [unrolled: 1-line block ×4, first 2 shown]
	v_add_f64_e32 v[211:212], v[156:157], v[164:165]
	v_add_f64_e64 v[213:214], v[166:167], -v[170:171]
	v_add_f64_e32 v[166:167], v[158:159], v[166:167]
	v_fma_f64 v[156:157], v[215:216], -0.5, v[156:157]
	v_add_f64_e64 v[164:165], v[164:165], -v[168:169]
	v_fma_f64 v[158:159], v[217:218], -0.5, v[158:159]
	v_add_f64_e32 v[148:149], v[186:187], v[154:155]
	v_add_f64_e32 v[154:155], v[162:163], v[178:179]
	v_mul_f64_e32 v[150:151], s[12:13], v[219:220]
	v_mul_f64_e32 v[174:175], -0.5, v[221:222]
	v_mul_f64_e32 v[215:216], s[14:15], v[196:197]
	v_mul_f64_e32 v[217:218], -0.5, v[198:199]
	v_fma_f64 v[204:205], v[204:205], -0.5, v[144:145]
	v_fma_f64 v[209:210], v[209:210], -0.5, v[146:147]
	v_add_f64_e32 v[144:145], v[184:185], v[152:153]
	v_add_f64_e32 v[146:147], v[160:161], v[176:177]
	v_mul_f64_e32 v[242:243], s[12:13], v[236:237]
	v_mul_f64_e32 v[244:245], -0.5, v[238:239]
	v_mul_f64_e32 v[246:247], s[14:15], v[194:195]
	v_mul_f64_e32 v[248:249], -0.5, v[192:193]
	v_add_f64_e32 v[211:212], v[211:212], v[168:169]
	v_add_f64_e32 v[250:251], v[166:167], v[170:171]
	v_fma_f64 v[188:189], v[213:214], s[12:13], v[156:157]
	v_fma_f64 v[190:191], v[213:214], s[14:15], v[156:157]
	v_fma_f64 v[213:214], v[164:165], s[14:15], v[158:159]
	v_fma_f64 v[252:253], v[164:165], s[12:13], v[158:159]
	v_add_f64_e64 v[186:187], v[148:149], -v[154:155]
	v_fma_f64 v[196:197], v[196:197], 0.5, v[150:151]
	v_fma_f64 v[198:199], v[198:199], s[12:13], v[174:175]
	v_fma_f64 v[215:216], v[219:220], 0.5, v[215:216]
	v_fma_f64 v[217:218], v[221:222], s[14:15], v[217:218]
	v_fma_f64 v[150:151], v[172:173], s[12:13], v[204:205]
	;; [unrolled: 1-line block ×5, first 2 shown]
	v_fma_f64 v[156:157], v[194:195], 0.5, v[242:243]
	v_fma_f64 v[158:159], v[192:193], s[12:13], v[244:245]
	v_fma_f64 v[164:165], v[236:237], 0.5, v[246:247]
	v_fma_f64 v[166:167], v[238:239], s[14:15], v[248:249]
	v_add_f64_e32 v[168:169], v[211:212], v[180:181]
	v_add_f64_e64 v[172:173], v[211:212], -v[180:181]
	v_add_f64_e32 v[170:171], v[250:251], v[182:183]
	v_add_f64_e64 v[174:175], v[250:251], -v[182:183]
	v_add_f64_e64 v[184:185], v[144:145], -v[146:147]
	v_add_lshl_u32 v236, v1, v3, 4
	v_mad_u16 v237, 0x21c, v0, v2
	v_add_f64_e32 v[176:177], v[188:189], v[196:197]
	v_add_f64_e32 v[180:181], v[190:191], v[198:199]
	v_add_f64_e64 v[192:193], v[188:189], -v[196:197]
	v_add_f64_e32 v[182:183], v[252:253], v[217:218]
	v_add_f64_e64 v[209:210], v[190:191], -v[198:199]
	;; [unrolled: 2-line block ×3, first 2 shown]
	v_add_f64_e64 v[211:212], v[252:253], -v[217:218]
	v_add_f64_e64 v[188:189], v[150:151], -v[156:157]
	;; [unrolled: 1-line block ×5, first 2 shown]
	ds_store_b128 v236, v[168:171]
	ds_store_b128 v236, v[176:179] offset:1440
	ds_store_b128 v236, v[180:183] offset:2880
	;; [unrolled: 1-line block ×5, first 2 shown]
	s_and_saveexec_b32 s1, s0
	s_cbranch_execz .LBB0_13
; %bb.12:
	v_add_f64_e32 v[148:149], v[148:149], v[154:155]
	v_add_f64_e32 v[146:147], v[144:145], v[146:147]
	;; [unrolled: 1-line block ×6, first 2 shown]
	v_and_b32_e32 v0, 0xffff, v237
	s_delay_alu instid0(VALU_DEP_1)
	v_lshlrev_b32_e32 v0, 4, v0
	ds_store_b128 v0, v[146:149]
	ds_store_b128 v0, v[164:167] offset:1440
	ds_store_b128 v0, v[160:163] offset:2880
	;; [unrolled: 1-line block ×5, first 2 shown]
.LBB0_13:
	s_wait_alu 0xfffe
	s_or_b32 exec_lo, exec_lo, s1
	global_wb scope:SCOPE_SE
	s_wait_dscnt 0x0
	s_barrier_signal -1
	s_barrier_wait -1
	global_inv scope:SCOPE_SE
	ds_load_b128 v[192:195], v226
	ds_load_b128 v[180:183], v226 offset:2592
	ds_load_b128 v[160:163], v226 offset:17280
	;; [unrolled: 1-line block ×8, first 2 shown]
	v_add_co_u32 v204, s1, s8, v226
	s_wait_alu 0xf1ff
	v_add_co_ci_u32_e64 v205, null, s9, 0, s1
	s_and_saveexec_b32 s1, vcc_lo
	s_cbranch_execz .LBB0_15
; %bb.14:
	ds_load_b128 v[184:187], v226 offset:7776
	ds_load_b128 v[188:191], v226 offset:16416
	;; [unrolled: 1-line block ×3, first 2 shown]
.LBB0_15:
	s_wait_alu 0xfffe
	s_or_b32 exec_lo, exec_lo, s1
	v_lshlrev_b32_e32 v0, 5, v225
	s_mov_b32 s13, 0xbfebb67a
	s_clause 0x1
	global_load_b128 v[152:155], v0, s[10:11] offset:8480
	global_load_b128 v[156:159], v0, s[10:11] offset:8496
	s_wait_loadcnt_dscnt 0x104
	v_mul_f64_e32 v[209:210], v[166:167], v[154:155]
	s_delay_alu instid0(VALU_DEP_1) | instskip(SKIP_1) | instid1(VALU_DEP_1)
	v_fma_f64 v[209:210], v[164:165], v[152:153], -v[209:210]
	v_mul_f64_e32 v[164:165], v[164:165], v[154:155]
	v_fma_f64 v[211:212], v[166:167], v[152:153], v[164:165]
	s_wait_loadcnt 0x0
	v_mul_f64_e32 v[164:165], v[162:163], v[158:159]
	s_delay_alu instid0(VALU_DEP_1) | instskip(SKIP_1) | instid1(VALU_DEP_1)
	v_fma_f64 v[213:214], v[160:161], v[156:157], -v[164:165]
	v_mul_f64_e32 v[160:161], v[160:161], v[158:159]
	v_fma_f64 v[215:216], v[162:163], v[156:157], v[160:161]
	v_lshlrev_b64_e32 v[160:161], 5, v[200:201]
	s_delay_alu instid0(VALU_DEP_1) | instskip(SKIP_1) | instid1(VALU_DEP_2)
	v_add_co_u32 v164, s1, s10, v160
	s_wait_alu 0xf1ff
	v_add_co_ci_u32_e64 v165, s1, s11, v161, s1
	s_clause 0x1
	global_load_b128 v[160:163], v[164:165], off offset:8480
	global_load_b128 v[164:167], v[164:165], off offset:8496
	s_wait_loadcnt_dscnt 0x102
	v_mul_f64_e32 v[200:201], v[174:175], v[162:163]
	s_delay_alu instid0(VALU_DEP_1) | instskip(SKIP_1) | instid1(VALU_DEP_1)
	v_fma_f64 v[217:218], v[172:173], v[160:161], -v[200:201]
	v_mul_f64_e32 v[172:173], v[172:173], v[162:163]
	v_fma_f64 v[219:220], v[174:175], v[160:161], v[172:173]
	s_wait_loadcnt 0x0
	v_mul_f64_e32 v[172:173], v[170:171], v[166:167]
	s_delay_alu instid0(VALU_DEP_1) | instskip(SKIP_1) | instid1(VALU_DEP_1)
	v_fma_f64 v[221:222], v[168:169], v[164:165], -v[172:173]
	v_mul_f64_e32 v[168:169], v[168:169], v[166:167]
	v_fma_f64 v[238:239], v[170:171], v[164:165], v[168:169]
	v_lshlrev_b64_e32 v[168:169], 5, v[202:203]
	s_delay_alu instid0(VALU_DEP_1) | instskip(SKIP_1) | instid1(VALU_DEP_2)
	v_add_co_u32 v172, s1, s10, v168
	s_wait_alu 0xf1ff
	v_add_co_ci_u32_e64 v173, s1, s11, v169, s1
	s_clause 0x1
	global_load_b128 v[168:171], v[172:173], off offset:8480
	global_load_b128 v[172:175], v[172:173], off offset:8496
	v_add_co_u32 v0, s1, 0xffffffca, v225
	s_wait_alu 0xf1ff
	v_add_co_ci_u32_e64 v1, null, 0, -1, s1
	s_wait_loadcnt_dscnt 0x101
	v_mul_f64_e32 v[200:201], v[150:151], v[170:171]
	s_delay_alu instid0(VALU_DEP_1) | instskip(SKIP_1) | instid1(VALU_DEP_1)
	v_fma_f64 v[242:243], v[148:149], v[168:169], -v[200:201]
	v_mul_f64_e32 v[148:149], v[148:149], v[170:171]
	v_fma_f64 v[240:241], v[150:151], v[168:169], v[148:149]
	s_wait_loadcnt_dscnt 0x0
	v_mul_f64_e32 v[148:149], v[146:147], v[174:175]
	s_delay_alu instid0(VALU_DEP_1) | instskip(SKIP_1) | instid1(VALU_DEP_1)
	v_fma_f64 v[244:245], v[144:145], v[172:173], -v[148:149]
	v_mul_f64_e32 v[144:145], v[144:145], v[174:175]
	v_fma_f64 v[246:247], v[146:147], v[172:173], v[144:145]
	v_dual_cndmask_b32 v145, v1, v208 :: v_dual_cndmask_b32 v144, v0, v207
	v_add_f64_e64 v[207:208], v[211:212], -v[215:216]
	s_delay_alu instid0(VALU_DEP_2) | instskip(NEXT) | instid1(VALU_DEP_1)
	v_lshlrev_b64_e32 v[144:145], 5, v[144:145]
	v_add_co_u32 v148, s1, s10, v144
	s_wait_alu 0xf1ff
	s_delay_alu instid0(VALU_DEP_2)
	v_add_co_ci_u32_e64 v149, s1, s11, v145, s1
	s_clause 0x1
	global_load_b128 v[144:147], v[148:149], off offset:8480
	global_load_b128 v[148:151], v[148:149], off offset:8496
	s_mov_b32 s10, 0xe8584caa
	s_mov_b32 s11, 0x3febb67a
	s_wait_alu 0xfffe
	s_mov_b32 s12, s10
	s_wait_loadcnt 0x1
	v_mul_f64_e32 v[200:201], v[190:191], v[146:147]
	s_delay_alu instid0(VALU_DEP_1) | instskip(SKIP_1) | instid1(VALU_DEP_1)
	v_fma_f64 v[200:201], v[188:189], v[144:145], -v[200:201]
	v_mul_f64_e32 v[188:189], v[188:189], v[146:147]
	v_fma_f64 v[202:203], v[190:191], v[144:145], v[188:189]
	s_wait_loadcnt 0x0
	v_mul_f64_e32 v[188:189], v[198:199], v[150:151]
	v_mul_f64_e32 v[190:191], v[196:197], v[150:151]
	s_delay_alu instid0(VALU_DEP_2) | instskip(SKIP_1) | instid1(VALU_DEP_3)
	v_fma_f64 v[188:189], v[196:197], v[148:149], -v[188:189]
	v_add_f64_e32 v[196:197], v[209:210], v[213:214]
	v_fma_f64 v[190:191], v[198:199], v[148:149], v[190:191]
	s_delay_alu instid0(VALU_DEP_2) | instskip(SKIP_3) | instid1(VALU_DEP_3)
	v_fma_f64 v[198:199], v[196:197], -0.5, v[192:193]
	v_add_f64_e32 v[196:197], v[211:212], v[215:216]
	v_add_f64_e32 v[192:193], v[192:193], v[209:210]
	v_add_f64_e64 v[209:210], v[209:210], -v[213:214]
	v_fma_f64 v[248:249], v[196:197], -0.5, v[194:195]
	v_add_f64_e32 v[194:195], v[194:195], v[211:212]
	v_add_f64_e32 v[211:212], v[217:218], v[221:222]
	v_fma_f64 v[196:197], v[207:208], s[10:11], v[198:199]
	s_wait_alu 0xfffe
	v_fma_f64 v[207:208], v[207:208], s[12:13], v[198:199]
	v_add_f64_e32 v[192:193], v[192:193], v[213:214]
	v_fma_f64 v[198:199], v[209:210], s[12:13], v[248:249]
	v_fma_f64 v[209:210], v[209:210], s[10:11], v[248:249]
	v_fma_f64 v[248:249], v[211:212], -0.5, v[180:181]
	v_add_f64_e32 v[211:212], v[219:220], v[238:239]
	v_add_f64_e32 v[180:181], v[180:181], v[217:218]
	;; [unrolled: 1-line block ×3, first 2 shown]
	s_delay_alu instid0(VALU_DEP_3) | instskip(NEXT) | instid1(VALU_DEP_3)
	v_fma_f64 v[250:251], v[211:212], -0.5, v[182:183]
	v_add_f64_e32 v[211:212], v[180:181], v[221:222]
	v_add_f64_e64 v[180:181], v[217:218], -v[221:222]
	v_add_f64_e32 v[182:183], v[182:183], v[219:220]
	v_add_f64_e64 v[219:220], v[219:220], -v[238:239]
	s_delay_alu instid0(VALU_DEP_3)
	v_fma_f64 v[217:218], v[180:181], s[12:13], v[250:251]
	v_fma_f64 v[221:222], v[180:181], s[10:11], v[250:251]
	v_add_f64_e32 v[180:181], v[242:243], v[244:245]
	v_add_f64_e32 v[213:214], v[182:183], v[238:239]
	;; [unrolled: 1-line block ×3, first 2 shown]
	v_fma_f64 v[215:216], v[219:220], s[10:11], v[248:249]
	v_fma_f64 v[219:220], v[219:220], s[12:13], v[248:249]
	v_add_f64_e64 v[248:249], v[240:241], -v[246:247]
	v_add_f64_e64 v[250:251], v[200:201], -v[188:189]
	v_fma_f64 v[180:181], v[180:181], -0.5, v[176:177]
	v_add_f64_e32 v[176:177], v[176:177], v[242:243]
	v_fma_f64 v[182:183], v[182:183], -0.5, v[178:179]
	v_add_f64_e32 v[178:179], v[178:179], v[240:241]
	s_delay_alu instid0(VALU_DEP_3) | instskip(SKIP_1) | instid1(VALU_DEP_3)
	v_add_f64_e32 v[238:239], v[176:177], v[244:245]
	v_add_f64_e64 v[176:177], v[242:243], -v[244:245]
	v_add_f64_e32 v[240:241], v[178:179], v[246:247]
	v_fma_f64 v[242:243], v[248:249], s[10:11], v[180:181]
	v_fma_f64 v[246:247], v[248:249], s[12:13], v[180:181]
	v_add_f64_e64 v[180:181], v[202:203], -v[190:191]
	v_fma_f64 v[244:245], v[176:177], s[12:13], v[182:183]
	v_fma_f64 v[248:249], v[176:177], s[10:11], v[182:183]
	v_add_f64_e32 v[176:177], v[200:201], v[188:189]
	ds_store_b128 v226, v[192:195]
	ds_store_b128 v226, v[211:214] offset:2592
	ds_store_b128 v226, v[207:210] offset:17280
	;; [unrolled: 1-line block ×8, first 2 shown]
	v_fma_f64 v[178:179], v[176:177], -0.5, v[184:185]
	v_add_f64_e32 v[176:177], v[202:203], v[190:191]
	s_delay_alu instid0(VALU_DEP_1) | instskip(NEXT) | instid1(VALU_DEP_3)
	v_fma_f64 v[182:183], v[176:177], -0.5, v[186:187]
	v_fma_f64 v[176:177], v[180:181], s[10:11], v[178:179]
	v_fma_f64 v[180:181], v[180:181], s[12:13], v[178:179]
	s_delay_alu instid0(VALU_DEP_3)
	v_fma_f64 v[178:179], v[250:251], s[12:13], v[182:183]
	v_fma_f64 v[182:183], v[250:251], s[10:11], v[182:183]
	s_and_saveexec_b32 s1, vcc_lo
	s_cbranch_execz .LBB0_17
; %bb.16:
	v_add_f64_e32 v[186:187], v[186:187], v[202:203]
	v_add_f64_e32 v[184:185], v[184:185], v[200:201]
	s_delay_alu instid0(VALU_DEP_2) | instskip(NEXT) | instid1(VALU_DEP_2)
	v_add_f64_e32 v[186:187], v[186:187], v[190:191]
	v_add_f64_e32 v[184:185], v[184:185], v[188:189]
	ds_store_b128 v226, v[184:187] offset:7776
	ds_store_b128 v226, v[176:179] offset:16416
	;; [unrolled: 1-line block ×3, first 2 shown]
.LBB0_17:
	s_wait_alu 0xfffe
	s_or_b32 exec_lo, exec_lo, s1
	global_wb scope:SCOPE_SE
	s_wait_dscnt 0x0
	s_barrier_signal -1
	s_barrier_wait -1
	global_inv scope:SCOPE_SE
	global_load_b128 v[184:187], v[204:205], off offset:25920
	s_add_nc_u64 s[8:9], s[8:9], 0x6540
	s_clause 0x5
	global_load_b128 v[188:191], v226, s[8:9] offset:2592
	global_load_b128 v[192:195], v226, s[8:9] offset:5184
	;; [unrolled: 1-line block ×6, first 2 shown]
	ds_load_b128 v[215:218], v226
	ds_load_b128 v[219:222], v226 offset:2592
	s_mov_b32 s11, 0x3fee6f0e
	s_mov_b32 s12, 0x4755a5e
	;; [unrolled: 1-line block ×4, first 2 shown]
	s_wait_alu 0xfffe
	s_mov_b32 s14, s12
	s_mov_b32 s16, 0x372fe950
	;; [unrolled: 1-line block ×6, first 2 shown]
	s_wait_alu 0xfffe
	s_mov_b32 s20, s16
	s_wait_loadcnt_dscnt 0x601
	v_mul_f64_e32 v[204:205], v[217:218], v[186:187]
	v_mul_f64_e32 v[186:187], v[215:216], v[186:187]
	s_delay_alu instid0(VALU_DEP_2) | instskip(SKIP_3) | instid1(VALU_DEP_4)
	v_fma_f64 v[215:216], v[215:216], v[184:185], -v[204:205]
	s_wait_loadcnt_dscnt 0x500
	v_mul_f64_e32 v[204:205], v[221:222], v[190:191]
	v_mul_f64_e32 v[190:191], v[219:220], v[190:191]
	v_fma_f64 v[217:218], v[217:218], v[184:185], v[186:187]
	ds_load_b128 v[184:187], v226 offset:5184
	v_fma_f64 v[219:220], v[219:220], v[188:189], -v[204:205]
	v_fma_f64 v[221:222], v[221:222], v[188:189], v[190:191]
	ds_load_b128 v[188:191], v226 offset:7776
	s_wait_loadcnt_dscnt 0x401
	v_mul_f64_e32 v[204:205], v[186:187], v[194:195]
	v_mul_f64_e32 v[194:195], v[184:185], v[194:195]
	s_delay_alu instid0(VALU_DEP_2) | instskip(SKIP_3) | instid1(VALU_DEP_4)
	v_fma_f64 v[184:185], v[184:185], v[192:193], -v[204:205]
	s_wait_loadcnt_dscnt 0x300
	v_mul_f64_e32 v[204:205], v[190:191], v[198:199]
	v_mul_f64_e32 v[198:199], v[188:189], v[198:199]
	v_fma_f64 v[186:187], v[186:187], v[192:193], v[194:195]
	ds_load_b128 v[192:195], v226 offset:10368
	v_fma_f64 v[188:189], v[188:189], v[196:197], -v[204:205]
	v_fma_f64 v[190:191], v[190:191], v[196:197], v[198:199]
	ds_load_b128 v[196:199], v226 offset:12960
	s_wait_loadcnt_dscnt 0x201
	v_mul_f64_e32 v[204:205], v[194:195], v[202:203]
	v_mul_f64_e32 v[202:203], v[192:193], v[202:203]
	s_delay_alu instid0(VALU_DEP_2) | instskip(SKIP_3) | instid1(VALU_DEP_4)
	v_fma_f64 v[192:193], v[192:193], v[200:201], -v[204:205]
	s_wait_loadcnt_dscnt 0x100
	v_mul_f64_e32 v[204:205], v[198:199], v[209:210]
	v_mul_f64_e32 v[209:210], v[196:197], v[209:210]
	v_fma_f64 v[194:195], v[194:195], v[200:201], v[202:203]
	ds_load_b128 v[200:203], v226 offset:15552
	v_fma_f64 v[196:197], v[196:197], v[207:208], -v[204:205]
	v_fma_f64 v[198:199], v[198:199], v[207:208], v[209:210]
	ds_load_b128 v[207:210], v226 offset:18144
	s_wait_loadcnt_dscnt 0x1
	v_mul_f64_e32 v[204:205], v[202:203], v[213:214]
	v_mul_f64_e32 v[213:214], v[200:201], v[213:214]
	s_delay_alu instid0(VALU_DEP_2) | instskip(NEXT) | instid1(VALU_DEP_2)
	v_fma_f64 v[200:201], v[200:201], v[211:212], -v[204:205]
	v_fma_f64 v[202:203], v[202:203], v[211:212], v[213:214]
	s_clause 0x1
	global_load_b128 v[211:214], v226, s[8:9] offset:18144
	global_load_b128 v[238:241], v226, s[8:9] offset:20736
	s_wait_loadcnt_dscnt 0x100
	v_mul_f64_e32 v[204:205], v[209:210], v[213:214]
	v_mul_f64_e32 v[213:214], v[207:208], v[213:214]
	s_delay_alu instid0(VALU_DEP_2) | instskip(NEXT) | instid1(VALU_DEP_2)
	v_fma_f64 v[207:208], v[207:208], v[211:212], -v[204:205]
	v_fma_f64 v[209:210], v[209:210], v[211:212], v[213:214]
	ds_load_b128 v[211:214], v226 offset:20736
	ds_load_b128 v[242:245], v226 offset:23328
	s_wait_loadcnt_dscnt 0x1
	v_mul_f64_e32 v[204:205], v[213:214], v[240:241]
	v_mul_f64_e32 v[240:241], v[211:212], v[240:241]
	s_delay_alu instid0(VALU_DEP_2) | instskip(NEXT) | instid1(VALU_DEP_2)
	v_fma_f64 v[211:212], v[211:212], v[238:239], -v[204:205]
	v_fma_f64 v[213:214], v[213:214], v[238:239], v[240:241]
	global_load_b128 v[238:241], v226, s[8:9] offset:23328
	s_mov_b32 s8, 0x134454ff
	s_mov_b32 s9, 0xbfee6f0e
	s_wait_alu 0xfffe
	s_mov_b32 s10, s8
	s_wait_loadcnt_dscnt 0x0
	v_mul_f64_e32 v[204:205], v[244:245], v[240:241]
	v_mul_f64_e32 v[246:247], v[242:243], v[240:241]
	s_delay_alu instid0(VALU_DEP_2) | instskip(NEXT) | instid1(VALU_DEP_2)
	v_fma_f64 v[240:241], v[242:243], v[238:239], -v[204:205]
	v_fma_f64 v[242:243], v[244:245], v[238:239], v[246:247]
	ds_store_b128 v226, v[215:218]
	ds_store_b128 v226, v[219:222] offset:2592
	ds_store_b128 v226, v[184:187] offset:5184
	;; [unrolled: 1-line block ×9, first 2 shown]
	global_wb scope:SCOPE_SE
	s_wait_dscnt 0x0
	s_barrier_signal -1
	s_barrier_wait -1
	global_inv scope:SCOPE_SE
	ds_load_b128 v[184:187], v226
	ds_load_b128 v[188:191], v226 offset:5184
	ds_load_b128 v[192:195], v226 offset:7776
	;; [unrolled: 1-line block ×7, first 2 shown]
	s_wait_dscnt 0x6
	v_add_f64_e32 v[204:205], v[184:185], v[188:189]
	v_add_f64_e32 v[219:220], v[186:187], v[190:191]
	s_wait_dscnt 0x3
	v_add_f64_e32 v[238:239], v[188:189], v[200:201]
	v_add_f64_e32 v[240:241], v[190:191], v[202:203]
	v_add_f64_e64 v[242:243], v[190:191], -v[202:203]
	v_add_f64_e64 v[244:245], v[188:189], -v[200:201]
	s_wait_dscnt 0x2
	v_add_f64_e64 v[246:247], v[188:189], -v[207:208]
	v_add_f64_e64 v[248:249], v[207:208], -v[188:189]
	;; [unrolled: 1-line block ×4, first 2 shown]
	s_wait_dscnt 0x1
	v_add_f64_e64 v[4:5], v[192:193], -v[211:212]
	s_wait_dscnt 0x0
	v_add_f64_e64 v[12:13], v[215:216], -v[192:193]
	v_add_f64_e64 v[6:7], v[194:195], -v[213:214]
	;; [unrolled: 1-line block ×4, first 2 shown]
	v_add_f64_e32 v[204:205], v[204:205], v[207:208]
	v_add_f64_e32 v[254:255], v[219:220], v[209:210]
	ds_load_b128 v[188:191], v226 offset:15552
	ds_load_b128 v[219:222], v226 offset:18144
	global_wb scope:SCOPE_SE
	s_wait_dscnt 0x0
	s_barrier_signal -1
	s_barrier_wait -1
	global_inv scope:SCOPE_SE
	v_add_f64_e32 v[227:228], v[207:208], v[188:189]
	v_add_f64_e32 v[223:224], v[209:210], v[190:191]
	v_add_f64_e64 v[229:230], v[209:210], -v[190:191]
	v_add_f64_e64 v[231:232], v[207:208], -v[188:189]
	;; [unrolled: 1-line block ×7, first 2 shown]
	v_add_f64_e32 v[204:205], v[204:205], v[188:189]
	v_add_f64_e32 v[207:208], v[254:255], v[190:191]
	v_add_f64_e64 v[254:255], v[188:189], -v[200:201]
	v_add_f64_e32 v[188:189], v[196:197], v[192:193]
	v_add_f64_e32 v[190:191], v[198:199], v[194:195]
	v_fma_f64 v[223:224], v[223:224], -0.5, v[186:187]
	v_fma_f64 v[186:187], v[240:241], -0.5, v[186:187]
	v_add_f64_e32 v[0:1], v[252:253], v[0:1]
	v_add_f64_e32 v[2:3], v[204:205], v[200:201]
	;; [unrolled: 1-line block ×7, first 2 shown]
	v_add_f64_e64 v[207:208], v[192:193], -v[215:216]
	v_add_f64_e32 v[192:193], v[215:216], v[219:220]
	v_add_f64_e32 v[202:203], v[194:195], v[213:214]
	v_add_f64_e64 v[217:218], v[213:214], -v[221:222]
	v_add_f64_e64 v[215:216], v[211:212], -v[219:220]
	v_fma_f64 v[26:27], v[204:205], -0.5, v[196:197]
	v_add_f64_e32 v[14:15], v[14:15], v[219:220]
	v_add_f64_e32 v[188:189], v[188:189], v[221:222]
	v_fma_f64 v[20:21], v[190:191], -0.5, v[198:199]
	v_fma_f64 v[204:205], v[227:228], -0.5, v[184:185]
	;; [unrolled: 1-line block ×4, first 2 shown]
	v_add_f64_e32 v[8:9], v[8:9], v[217:218]
	v_add_f64_e32 v[227:228], v[250:251], v[233:234]
	v_add_f64_e64 v[221:222], v[221:222], -v[213:214]
	v_add_f64_e64 v[219:220], v[219:220], -v[211:212]
	v_fma_f64 v[184:185], v[238:239], -0.5, v[184:185]
	v_add_f64_e32 v[14:15], v[14:15], v[211:212]
	v_add_f64_e32 v[194:195], v[188:189], v[213:214]
	s_wait_alu 0xfffe
	v_fma_f64 v[196:197], v[4:5], s[10:11], v[20:21]
	v_fma_f64 v[198:199], v[6:7], s[8:9], v[24:25]
	v_add_f64_e32 v[10:11], v[10:11], v[221:222]
	v_add_f64_e32 v[12:13], v[12:13], v[219:220]
	;; [unrolled: 1-line block ×3, first 2 shown]
	v_add_f64_e64 v[192:193], v[2:3], -v[14:15]
	v_fma_f64 v[196:197], v[16:17], s[14:15], v[196:197]
	v_add_f64_e32 v[2:3], v[207:208], v[215:216]
	v_fma_f64 v[198:199], v[18:19], s[12:13], v[198:199]
	v_add_f64_e32 v[190:191], v[200:201], v[194:195]
	v_add_f64_e64 v[194:195], v[200:201], -v[194:195]
	v_add_f64_e32 v[14:15], v[246:247], v[209:210]
	v_add_f64_e32 v[215:216], v[248:249], v[254:255]
	v_fma_f64 v[196:197], v[8:9], s[16:17], v[196:197]
	v_fma_f64 v[198:199], v[2:3], s[16:17], v[198:199]
	s_delay_alu instid0(VALU_DEP_2) | instskip(NEXT) | instid1(VALU_DEP_1)
	v_mul_f64_e32 v[200:201], s[12:13], v[196:197]
	v_fma_f64 v[200:201], v[198:199], s[18:19], v[200:201]
	v_mul_f64_e32 v[198:199], s[14:15], v[198:199]
	s_delay_alu instid0(VALU_DEP_1) | instskip(SKIP_3) | instid1(VALU_DEP_2)
	v_fma_f64 v[202:203], v[196:197], s[18:19], v[198:199]
	v_fma_f64 v[196:197], v[242:243], s[8:9], v[204:205]
	v_fma_f64 v[198:199], v[244:245], s[10:11], v[223:224]
	s_mov_b32 s19, 0xbfe9e377
	v_fma_f64 v[196:197], v[229:230], s[12:13], v[196:197]
	s_delay_alu instid0(VALU_DEP_2) | instskip(NEXT) | instid1(VALU_DEP_2)
	v_fma_f64 v[198:199], v[231:232], s[14:15], v[198:199]
	v_fma_f64 v[207:208], v[14:15], s[16:17], v[196:197]
	s_delay_alu instid0(VALU_DEP_2) | instskip(NEXT) | instid1(VALU_DEP_2)
	v_fma_f64 v[209:210], v[227:228], s[16:17], v[198:199]
	v_add_f64_e32 v[196:197], v[207:208], v[200:201]
	v_add_f64_e64 v[200:201], v[207:208], -v[200:201]
	v_fma_f64 v[207:208], v[16:17], s[8:9], v[22:23]
	s_delay_alu instid0(VALU_DEP_4) | instskip(SKIP_4) | instid1(VALU_DEP_3)
	v_add_f64_e32 v[198:199], v[209:210], v[202:203]
	v_add_f64_e64 v[202:203], v[209:210], -v[202:203]
	v_fma_f64 v[209:210], v[18:19], s[10:11], v[26:27]
	v_fma_f64 v[22:23], v[16:17], s[10:11], v[22:23]
	;; [unrolled: 1-line block ×4, first 2 shown]
	s_delay_alu instid0(VALU_DEP_3) | instskip(NEXT) | instid1(VALU_DEP_3)
	v_fma_f64 v[22:23], v[4:5], s[12:13], v[22:23]
	v_fma_f64 v[207:208], v[10:11], s[16:17], v[207:208]
	s_delay_alu instid0(VALU_DEP_3) | instskip(NEXT) | instid1(VALU_DEP_3)
	v_fma_f64 v[209:210], v[12:13], s[16:17], v[209:210]
	v_fma_f64 v[10:11], v[10:11], s[16:17], v[22:23]
	;; [unrolled: 1-line block ×4, first 2 shown]
	v_mul_f64_e32 v[211:212], s[8:9], v[207:208]
	v_mul_f64_e32 v[207:208], s[16:17], v[207:208]
	s_delay_alu instid0(VALU_DEP_4) | instskip(NEXT) | instid1(VALU_DEP_4)
	v_fma_f64 v[22:23], v[6:7], s[14:15], v[22:23]
	v_fma_f64 v[26:27], v[244:245], s[12:13], v[26:27]
	s_delay_alu instid0(VALU_DEP_4) | instskip(NEXT) | instid1(VALU_DEP_4)
	v_fma_f64 v[211:212], v[209:210], s[16:17], v[211:212]
	v_fma_f64 v[213:214], v[209:210], s[10:11], v[207:208]
	;; [unrolled: 1-line block ×6, first 2 shown]
	s_delay_alu instid0(VALU_DEP_4) | instskip(NEXT) | instid1(VALU_DEP_4)
	v_fma_f64 v[209:210], v[244:245], s[14:15], v[209:210]
	v_fma_f64 v[207:208], v[242:243], s[12:13], v[207:208]
	s_delay_alu instid0(VALU_DEP_3) | instskip(NEXT) | instid1(VALU_DEP_3)
	v_fma_f64 v[22:23], v[242:243], s[14:15], v[22:23]
	v_fma_f64 v[219:220], v[0:1], s[16:17], v[209:210]
	;; [unrolled: 1-line block ×3, first 2 shown]
	v_mul_f64_e32 v[26:27], s[8:9], v[10:11]
	v_mul_f64_e32 v[10:11], s[20:21], v[10:11]
	v_fma_f64 v[217:218], v[215:216], s[16:17], v[207:208]
	v_fma_f64 v[22:23], v[215:216], s[16:17], v[22:23]
	v_add_f64_e32 v[209:210], v[219:220], v[213:214]
	v_add_f64_e64 v[213:214], v[219:220], -v[213:214]
	v_fma_f64 v[26:27], v[12:13], s[20:21], v[26:27]
	v_fma_f64 v[10:11], v[12:13], s[10:11], v[10:11]
	v_add_f64_e32 v[207:208], v[217:218], v[211:212]
	v_add_f64_e64 v[211:212], v[217:218], -v[211:212]
	s_delay_alu instid0(VALU_DEP_4) | instskip(NEXT) | instid1(VALU_DEP_4)
	v_add_f64_e32 v[215:216], v[22:23], v[26:27]
	v_add_f64_e32 v[217:218], v[0:1], v[10:11]
	v_add_f64_e64 v[221:222], v[0:1], -v[10:11]
	v_fma_f64 v[0:1], v[4:5], s[8:9], v[20:21]
	v_fma_f64 v[4:5], v[6:7], s[10:11], v[24:25]
	;; [unrolled: 1-line block ×4, first 2 shown]
	v_add_f64_e64 v[219:220], v[22:23], -v[26:27]
	v_fma_f64 v[0:1], v[16:17], s[12:13], v[0:1]
	v_fma_f64 v[4:5], v[18:19], s[14:15], v[4:5]
	;; [unrolled: 1-line block ×4, first 2 shown]
	s_delay_alu instid0(VALU_DEP_4) | instskip(NEXT) | instid1(VALU_DEP_4)
	v_fma_f64 v[0:1], v[8:9], s[16:17], v[0:1]
	v_fma_f64 v[2:3], v[2:3], s[16:17], v[4:5]
	s_delay_alu instid0(VALU_DEP_4) | instskip(NEXT) | instid1(VALU_DEP_4)
	v_fma_f64 v[4:5], v[14:15], s[16:17], v[6:7]
	v_fma_f64 v[6:7], v[227:228], s[16:17], v[10:11]
	s_delay_alu instid0(VALU_DEP_4) | instskip(SKIP_2) | instid1(VALU_DEP_2)
	v_mul_f64_e32 v[8:9], s[12:13], v[0:1]
	s_wait_alu 0xfffe
	v_mul_f64_e32 v[0:1], s[18:19], v[0:1]
	v_fma_f64 v[8:9], v[2:3], s[18:19], v[8:9]
	s_delay_alu instid0(VALU_DEP_2) | instskip(NEXT) | instid1(VALU_DEP_2)
	v_fma_f64 v[0:1], v[2:3], s[14:15], v[0:1]
	v_add_f64_e32 v[238:239], v[4:5], v[8:9]
	s_delay_alu instid0(VALU_DEP_2)
	v_add_f64_e32 v[240:241], v[6:7], v[0:1]
	v_add_f64_e64 v[184:185], v[4:5], -v[8:9]
	v_add_f64_e64 v[186:187], v[6:7], -v[0:1]
	ds_store_b128 v206, v[188:191]
	ds_store_b128 v206, v[196:199] offset:16
	ds_store_b128 v206, v[207:210] offset:32
	;; [unrolled: 1-line block ×9, first 2 shown]
	global_wb scope:SCOPE_SE
	s_wait_dscnt 0x0
	s_barrier_signal -1
	s_barrier_wait -1
	global_inv scope:SCOPE_SE
	ds_load_b128 v[192:195], v226
	ds_load_b128 v[188:191], v226 offset:2592
	ds_load_b128 v[212:215], v226 offset:17280
	;; [unrolled: 1-line block ×8, first 2 shown]
	s_and_saveexec_b32 s1, vcc_lo
	s_cbranch_execz .LBB0_19
; %bb.18:
	ds_load_b128 v[184:187], v226 offset:7776
	ds_load_b128 v[176:179], v226 offset:16416
	;; [unrolled: 1-line block ×3, first 2 shown]
.LBB0_19:
	s_wait_alu 0xfffe
	s_or_b32 exec_lo, exec_lo, s1
	s_wait_dscnt 0x4
	v_mul_f64_e32 v[4:5], v[54:55], v[220:221]
	v_mul_f64_e32 v[6:7], v[50:51], v[212:213]
	;; [unrolled: 1-line block ×4, first 2 shown]
	s_wait_dscnt 0x2
	v_mul_f64_e32 v[12:13], v[62:63], v[216:217]
	v_mul_f64_e32 v[14:15], v[58:59], v[200:201]
	s_wait_dscnt 0x1
	v_mul_f64_e32 v[16:17], v[46:47], v[206:207]
	s_wait_dscnt 0x0
	v_mul_f64_e32 v[18:19], v[42:43], v[210:211]
	v_mul_f64_e32 v[20:21], v[46:47], v[204:205]
	;; [unrolled: 1-line block ×8, first 2 shown]
	s_mov_b32 s8, 0xe8584caa
	s_mov_b32 s9, 0xbfebb67a
	;; [unrolled: 1-line block ×3, first 2 shown]
	s_wait_alu 0xfffe
	s_mov_b32 s10, s8
	global_wb scope:SCOPE_SE
	s_barrier_signal -1
	s_barrier_wait -1
	global_inv scope:SCOPE_SE
	v_mul_f64_e32 v[10:11], v[58:59], v[202:203]
	v_fma_f64 v[4:5], v[52:53], v[222:223], -v[4:5]
	v_fma_f64 v[6:7], v[48:49], v[214:215], -v[6:7]
	v_fma_f64 v[0:1], v[52:53], v[220:221], v[0:1]
	v_fma_f64 v[2:3], v[48:49], v[212:213], v[2:3]
	v_fma_f64 v[12:13], v[60:61], v[218:219], -v[12:13]
	v_fma_f64 v[14:15], v[56:57], v[202:203], -v[14:15]
	v_fma_f64 v[16:17], v[44:45], v[204:205], v[16:17]
	v_fma_f64 v[18:19], v[40:41], v[208:209], v[18:19]
	v_fma_f64 v[20:21], v[44:45], v[206:207], -v[20:21]
	v_fma_f64 v[22:23], v[40:41], v[210:211], -v[22:23]
	;; [unrolled: 1-line block ×4, first 2 shown]
	v_fma_f64 v[8:9], v[60:61], v[216:217], v[8:9]
	v_fma_f64 v[24:25], v[68:69], v[176:177], v[24:25]
	;; [unrolled: 1-line block ×4, first 2 shown]
	v_add_f64_e32 v[46:47], v[4:5], v[6:7]
	v_add_f64_e32 v[60:61], v[192:193], v[0:1]
	;; [unrolled: 1-line block ×5, first 2 shown]
	v_add_f64_e64 v[0:1], v[0:1], -v[2:3]
	v_add_f64_e64 v[62:63], v[4:5], -v[6:7]
	v_add_f64_e32 v[70:71], v[198:199], v[20:21]
	v_add_f64_e32 v[54:55], v[20:21], v[22:23]
	;; [unrolled: 1-line block ×8, first 2 shown]
	v_add_f64_e64 v[12:13], v[12:13], -v[14:15]
	v_add_f64_e32 v[58:59], v[40:41], v[42:43]
	v_add_f64_e32 v[56:57], v[24:25], v[26:27]
	v_add_f64_e64 v[24:25], v[24:25], -v[26:27]
	v_add_f64_e64 v[20:21], v[20:21], -v[22:23]
	;; [unrolled: 1-line block ×3, first 2 shown]
	v_add_f64_e32 v[48:49], v[8:9], v[10:11]
	v_add_f64_e64 v[8:9], v[8:9], -v[10:11]
	v_fma_f64 v[182:183], v[46:47], -0.5, v[194:195]
	v_fma_f64 v[180:181], v[44:45], -0.5, v[192:193]
	v_add_f64_e32 v[44:45], v[60:61], v[2:3]
	v_fma_f64 v[190:191], v[50:51], -0.5, v[190:191]
	v_add_f64_e32 v[50:51], v[66:67], v[14:15]
	;; [unrolled: 2-line block ×3, first 2 shown]
	v_add_f64_e32 v[46:47], v[4:5], v[6:7]
	v_fma_f64 v[192:193], v[52:53], -0.5, v[196:197]
	v_add_f64_e32 v[52:53], v[68:69], v[18:19]
	v_add_f64_e64 v[196:197], v[40:41], -v[42:43]
	v_add_f64_e32 v[40:41], v[176:177], v[26:27]
	v_add_f64_e32 v[42:43], v[178:179], v[42:43]
	v_fma_f64 v[200:201], v[58:59], -0.5, v[186:187]
	v_fma_f64 v[198:199], v[56:57], -0.5, v[184:185]
	v_fma_f64 v[188:189], v[48:49], -0.5, v[188:189]
	v_add_f64_e32 v[48:49], v[64:65], v[10:11]
	s_wait_alu 0xfffe
	v_fma_f64 v[66:67], v[0:1], s[10:11], v[182:183]
	v_fma_f64 v[70:71], v[0:1], s[8:9], v[182:183]
	scratch_load_b32 v0, off, off offset:136 th:TH_LOAD_LU ; 4-byte Folded Reload
	v_fma_f64 v[64:65], v[62:63], s[8:9], v[180:181]
	v_fma_f64 v[68:69], v[62:63], s[10:11], v[180:181]
	;; [unrolled: 1-line block ×4, first 2 shown]
	s_wait_loadcnt 0x0
	ds_store_b128 v0, v[44:47]
	ds_store_b128 v0, v[64:67] offset:160
	ds_store_b128 v0, v[68:71] offset:320
	scratch_load_b32 v0, off, off offset:132 th:TH_LOAD_LU ; 4-byte Folded Reload
	v_fma_f64 v[176:177], v[12:13], s[8:9], v[188:189]
	v_fma_f64 v[180:181], v[12:13], s[10:11], v[188:189]
	;; [unrolled: 1-line block ×10, first 2 shown]
	s_wait_loadcnt 0x0
	ds_store_b128 v0, v[48:51]
	ds_store_b128 v0, v[176:179] offset:160
	ds_store_b128 v0, v[180:183] offset:320
	scratch_load_b32 v0, off, off offset:128 th:TH_LOAD_LU ; 4-byte Folded Reload
	s_wait_loadcnt 0x0
	ds_store_b128 v0, v[52:55]
	ds_store_b128 v0, v[184:187] offset:160
	ds_store_b128 v0, v[188:191] offset:320
	s_and_saveexec_b32 s1, vcc_lo
	s_cbranch_execz .LBB0_21
; %bb.20:
	s_clause 0x1
	scratch_load_b32 v0, off, off offset:120 th:TH_LOAD_LU
	scratch_load_b32 v1, off, off offset:124 th:TH_LOAD_LU
	s_wait_loadcnt 0x0
	v_mad_u16 v0, v0, 30, v1
	s_delay_alu instid0(VALU_DEP_1) | instskip(NEXT) | instid1(VALU_DEP_1)
	v_and_b32_e32 v0, 0xffff, v0
	v_lshlrev_b32_e32 v0, 4, v0
	ds_store_b128 v0, v[40:43]
	ds_store_b128 v0, v[56:59] offset:160
	ds_store_b128 v0, v[60:63] offset:320
.LBB0_21:
	s_wait_alu 0xfffe
	s_or_b32 exec_lo, exec_lo, s1
	global_wb scope:SCOPE_SE
	s_wait_dscnt 0x0
	s_barrier_signal -1
	s_barrier_wait -1
	global_inv scope:SCOPE_SE
	ds_load_b128 v[48:51], v226
	ds_load_b128 v[44:47], v226 offset:2592
	ds_load_b128 v[180:183], v226 offset:17280
	;; [unrolled: 1-line block ×8, first 2 shown]
	s_and_saveexec_b32 s1, vcc_lo
	s_cbranch_execz .LBB0_23
; %bb.22:
	ds_load_b128 v[40:43], v226 offset:7776
	ds_load_b128 v[56:59], v226 offset:16416
	;; [unrolled: 1-line block ×3, first 2 shown]
.LBB0_23:
	s_wait_alu 0xfffe
	s_or_b32 exec_lo, exec_lo, s1
	s_wait_dscnt 0x4
	v_mul_f64_e32 v[0:1], v[90:91], v[190:191]
	v_mul_f64_e32 v[2:3], v[74:75], v[182:183]
	;; [unrolled: 1-line block ×5, first 2 shown]
	s_wait_dscnt 0x2
	v_mul_f64_e32 v[12:13], v[94:95], v[184:185]
	v_mul_f64_e32 v[14:15], v[78:79], v[64:65]
	s_wait_dscnt 0x1
	v_mul_f64_e32 v[24:25], v[102:103], v[58:59]
	s_wait_dscnt 0x0
	v_mul_f64_e32 v[26:27], v[98:99], v[62:63]
	v_mul_f64_e32 v[74:75], v[102:103], v[56:57]
	;; [unrolled: 1-line block ×8, first 2 shown]
	s_mov_b32 s10, s8
	global_wb scope:SCOPE_SE
	s_barrier_signal -1
	s_barrier_wait -1
	global_inv scope:SCOPE_SE
	v_fma_f64 v[0:1], v[88:89], v[188:189], v[0:1]
	v_fma_f64 v[2:3], v[72:73], v[180:181], v[2:3]
	v_fma_f64 v[4:5], v[88:89], v[190:191], -v[4:5]
	v_fma_f64 v[6:7], v[72:73], v[182:183], -v[6:7]
	v_fma_f64 v[10:11], v[76:77], v[64:65], v[10:11]
	v_fma_f64 v[12:13], v[92:93], v[186:187], -v[12:13]
	v_fma_f64 v[14:15], v[76:77], v[66:67], -v[14:15]
	v_fma_f64 v[24:25], v[100:101], v[56:57], v[24:25]
	v_fma_f64 v[26:27], v[96:97], v[60:61], v[26:27]
	v_fma_f64 v[56:57], v[100:101], v[58:59], -v[74:75]
	v_fma_f64 v[64:65], v[96:97], v[62:63], -v[78:79]
	v_fma_f64 v[16:17], v[84:85], v[68:69], v[16:17]
	;; [unrolled: 4-line block ×3, first 2 shown]
	v_add_f64_e32 v[76:77], v[48:49], v[0:1]
	v_add_f64_e32 v[58:59], v[0:1], v[2:3]
	v_add_f64_e64 v[0:1], v[0:1], -v[2:3]
	v_add_f64_e32 v[60:61], v[4:5], v[6:7]
	v_add_f64_e64 v[78:79], v[4:5], -v[6:7]
	v_add_f64_e32 v[4:5], v[50:51], v[4:5]
	v_add_f64_e32 v[66:67], v[12:13], v[14:15]
	;; [unrolled: 1-line block ×3, first 2 shown]
	v_add_f64_e64 v[12:13], v[12:13], -v[14:15]
	v_add_f64_e32 v[90:91], v[42:43], v[56:57]
	v_add_f64_e32 v[74:75], v[56:57], v[64:65]
	v_add_f64_e64 v[92:93], v[56:57], -v[64:65]
	v_add_f64_e32 v[68:69], v[16:17], v[18:19]
	v_add_f64_e32 v[84:85], v[52:53], v[16:17]
	;; [unrolled: 1-line block ×6, first 2 shown]
	v_add_f64_e64 v[8:9], v[8:9], -v[10:11]
	v_add_f64_e32 v[72:73], v[24:25], v[26:27]
	v_add_f64_e32 v[88:89], v[40:41], v[24:25]
	v_add_f64_e64 v[20:21], v[20:21], -v[22:23]
	v_add_f64_e64 v[16:17], v[16:17], -v[18:19]
	;; [unrolled: 1-line block ×3, first 2 shown]
	v_add_f64_e32 v[56:57], v[76:77], v[2:3]
	v_fma_f64 v[48:49], v[58:59], -0.5, v[48:49]
	v_fma_f64 v[50:51], v[60:61], -0.5, v[50:51]
	v_add_f64_e32 v[58:59], v[4:5], v[6:7]
	v_fma_f64 v[46:47], v[66:67], -0.5, v[46:47]
	v_fma_f64 v[96:97], v[74:75], -0.5, v[42:43]
	;; [unrolled: 3-line block ×3, first 2 shown]
	v_add_f64_e32 v[42:43], v[86:87], v[22:23]
	v_fma_f64 v[44:45], v[62:63], -0.5, v[44:45]
	v_add_f64_e32 v[60:61], v[80:81], v[10:11]
	v_add_f64_e32 v[62:63], v[82:83], v[14:15]
	v_fma_f64 v[94:95], v[72:73], -0.5, v[40:41]
	v_add_f64_e32 v[40:41], v[84:85], v[18:19]
	v_add_f64_e32 v[72:73], v[88:89], v[26:27]
	v_fma_f64 v[64:65], v[78:79], s[8:9], v[48:49]
	s_wait_alu 0xfffe
	v_fma_f64 v[68:69], v[78:79], s[10:11], v[48:49]
	v_fma_f64 v[66:67], v[0:1], s[10:11], v[50:51]
	;; [unrolled: 1-line block ×3, first 2 shown]
	ds_store_b128 v235, v[56:59]
	ds_store_b128 v235, v[64:67] offset:480
	ds_store_b128 v235, v[68:71] offset:960
	scratch_load_b32 v0, off, off offset:148 th:TH_LOAD_LU ; 4-byte Folded Reload
	v_fma_f64 v[80:81], v[12:13], s[8:9], v[44:45]
	v_fma_f64 v[82:83], v[8:9], s[10:11], v[46:47]
	;; [unrolled: 1-line block ×12, first 2 shown]
	s_wait_loadcnt 0x0
	ds_store_b128 v0, v[60:63]
	ds_store_b128 v0, v[80:83] offset:480
	ds_store_b128 v0, v[84:87] offset:960
	scratch_load_b32 v0, off, off offset:144 th:TH_LOAD_LU ; 4-byte Folded Reload
	s_wait_loadcnt 0x0
	ds_store_b128 v0, v[40:43]
	ds_store_b128 v0, v[44:47] offset:480
	ds_store_b128 v0, v[48:51] offset:960
	s_and_saveexec_b32 s1, vcc_lo
	s_cbranch_execz .LBB0_25
; %bb.24:
	scratch_load_b32 v0, off, off offset:140 th:TH_LOAD_LU ; 4-byte Folded Reload
	s_wait_loadcnt 0x0
	v_and_b32_e32 v0, 0xffff, v0
	s_delay_alu instid0(VALU_DEP_1)
	v_lshlrev_b32_e32 v0, 4, v0
	ds_store_b128 v0, v[72:75]
	ds_store_b128 v0, v[52:55] offset:480
	ds_store_b128 v0, v[76:79] offset:960
.LBB0_25:
	s_wait_alu 0xfffe
	s_or_b32 exec_lo, exec_lo, s1
	global_wb scope:SCOPE_SE
	s_wait_dscnt 0x0
	s_barrier_signal -1
	s_barrier_wait -1
	global_inv scope:SCOPE_SE
	ds_load_b128 v[56:59], v226
	ds_load_b128 v[60:63], v226 offset:4320
	ds_load_b128 v[64:67], v226 offset:8640
	;; [unrolled: 1-line block ×5, first 2 shown]
	s_and_saveexec_b32 s1, s0
	s_cbranch_execz .LBB0_27
; %bb.26:
	ds_load_b128 v[40:43], v226 offset:2592
	ds_load_b128 v[44:47], v226 offset:6912
	;; [unrolled: 1-line block ×6, first 2 shown]
.LBB0_27:
	s_wait_alu 0xfffe
	s_or_b32 exec_lo, exec_lo, s1
	s_wait_dscnt 0x2
	v_mul_f64_e32 v[0:1], v[134:135], v[80:81]
	s_wait_dscnt 0x0
	v_mul_f64_e32 v[2:3], v[138:139], v[84:85]
	v_mul_f64_e32 v[4:5], v[130:131], v[72:73]
	;; [unrolled: 1-line block ×13, first 2 shown]
	s_mov_b32 s10, s8
	global_wb scope:SCOPE_SE
	s_barrier_signal -1
	s_barrier_wait -1
	global_inv scope:SCOPE_SE
	v_fma_f64 v[0:1], v[132:133], v[82:83], -v[0:1]
	v_fma_f64 v[2:3], v[136:137], v[86:87], -v[2:3]
	;; [unrolled: 1-line block ×4, first 2 shown]
	v_mul_f64_e32 v[74:75], v[122:123], v[68:69]
	v_mul_f64_e32 v[78:79], v[106:107], v[46:47]
	v_fma_f64 v[10:11], v[132:133], v[80:81], v[10:11]
	v_fma_f64 v[12:13], v[136:137], v[84:85], v[12:13]
	v_fma_f64 v[8:9], v[116:117], v[62:63], -v[8:9]
	v_mul_f64_e32 v[80:81], v[114:115], v[50:51]
	v_mul_f64_e32 v[82:83], v[114:115], v[48:49]
	;; [unrolled: 1-line block ×4, first 2 shown]
	v_fma_f64 v[16:17], v[128:129], v[72:73], v[16:17]
	v_fma_f64 v[18:19], v[140:141], v[76:77], v[18:19]
	v_fma_f64 v[14:15], v[104:105], v[46:47], -v[14:15]
	v_fma_f64 v[22:23], v[124:125], v[64:65], v[22:23]
	v_fma_f64 v[24:25], v[124:125], v[66:67], -v[24:25]
	v_fma_f64 v[26:27], v[120:121], v[68:69], v[26:27]
	v_fma_f64 v[20:21], v[116:117], v[60:61], v[20:21]
	v_add_f64_e32 v[62:63], v[0:1], v[2:3]
	v_add_f64_e64 v[76:77], v[0:1], -v[2:3]
	v_add_f64_e32 v[46:47], v[4:5], v[6:7]
	v_fma_f64 v[64:65], v[120:121], v[70:71], -v[74:75]
	v_fma_f64 v[44:45], v[104:105], v[44:45], v[78:79]
	v_add_f64_e32 v[60:61], v[10:11], v[12:13]
	v_add_f64_e64 v[66:67], v[10:11], -v[12:13]
	v_fma_f64 v[48:49], v[112:113], v[48:49], v[80:81]
	v_fma_f64 v[50:51], v[112:113], v[50:51], -v[82:83]
	v_fma_f64 v[52:53], v[108:109], v[52:53], v[84:85]
	v_fma_f64 v[54:55], v[108:109], v[54:55], -v[86:87]
	v_add_f64_e64 v[82:83], v[4:5], -v[6:7]
	v_add_f64_e32 v[68:69], v[16:17], v[18:19]
	v_add_f64_e64 v[70:71], v[16:17], -v[18:19]
	v_add_f64_e32 v[0:1], v[8:9], v[0:1]
	v_add_f64_e32 v[4:5], v[14:15], v[4:5]
	;; [unrolled: 1-line block ×4, first 2 shown]
	v_fma_f64 v[62:63], v[62:63], -0.5, v[8:9]
	v_fma_f64 v[46:47], v[46:47], -0.5, v[14:15]
	v_add_f64_e32 v[74:75], v[24:25], v[64:65]
	v_add_f64_e64 v[86:87], v[24:25], -v[64:65]
	v_add_f64_e32 v[24:25], v[58:59], v[24:25]
	v_fma_f64 v[60:61], v[60:61], -0.5, v[20:21]
	v_add_f64_e32 v[16:17], v[44:45], v[16:17]
	v_add_f64_e32 v[8:9], v[40:41], v[48:49]
	;; [unrolled: 1-line block ×3, first 2 shown]
	v_add_f64_e64 v[20:21], v[50:51], -v[54:55]
	v_fma_f64 v[68:69], v[68:69], -0.5, v[44:45]
	v_add_f64_e32 v[50:51], v[42:43], v[50:51]
	v_add_f64_e32 v[0:1], v[0:1], v[2:3]
	v_fma_f64 v[14:15], v[72:73], -0.5, v[56:57]
	v_add_f64_e32 v[10:11], v[10:11], v[12:13]
	s_wait_alu 0xfffe
	v_fma_f64 v[78:79], v[66:67], s[10:11], v[62:63]
	v_fma_f64 v[62:63], v[66:67], s[8:9], v[62:63]
	v_add_f64_e32 v[66:67], v[48:49], v[52:53]
	v_fma_f64 v[84:85], v[70:71], s[10:11], v[46:47]
	v_fma_f64 v[46:47], v[70:71], s[8:9], v[46:47]
	v_add_f64_e32 v[70:71], v[56:57], v[22:23]
	v_add_f64_e64 v[48:49], v[48:49], -v[52:53]
	v_fma_f64 v[44:45], v[74:75], -0.5, v[58:59]
	v_fma_f64 v[58:59], v[76:77], s[8:9], v[60:61]
	v_fma_f64 v[60:61], v[76:77], s[10:11], v[60:61]
	v_add_f64_e64 v[22:23], v[22:23], -v[26:27]
	v_fma_f64 v[42:43], v[80:81], -0.5, v[42:43]
	v_add_f64_e32 v[24:25], v[24:25], v[64:65]
	v_fma_f64 v[80:81], v[82:83], s[8:9], v[68:69]
	v_fma_f64 v[82:83], v[82:83], s[10:11], v[68:69]
	v_add_f64_e32 v[52:53], v[8:9], v[52:53]
	v_add_f64_e32 v[56:57], v[50:51], v[54:55]
	;; [unrolled: 1-line block ×3, first 2 shown]
	v_fma_f64 v[2:3], v[86:87], s[8:9], v[14:15]
	v_mul_f64_e32 v[72:73], s[8:9], v[78:79]
	v_mul_f64_e32 v[74:75], s[8:9], v[62:63]
	v_mul_f64_e32 v[76:77], 0.5, v[78:79]
	v_mul_f64_e32 v[78:79], -0.5, v[62:63]
	v_fma_f64 v[40:41], v[66:67], -0.5, v[40:41]
	v_mul_f64_e32 v[66:67], s[8:9], v[84:85]
	v_mul_f64_e32 v[88:89], s[8:9], v[46:47]
	v_mul_f64_e32 v[84:85], 0.5, v[84:85]
	v_mul_f64_e32 v[46:47], -0.5, v[46:47]
	v_add_f64_e32 v[26:27], v[70:71], v[26:27]
	v_add_f64_e32 v[62:63], v[4:5], v[6:7]
	v_fma_f64 v[4:5], v[86:87], s[10:11], v[14:15]
	v_fma_f64 v[68:69], v[48:49], s[10:11], v[42:43]
	;; [unrolled: 1-line block ×5, first 2 shown]
	v_fma_f64 v[12:13], v[58:59], 0.5, v[72:73]
	v_fma_f64 v[14:15], v[60:61], -0.5, v[74:75]
	v_fma_f64 v[16:17], v[58:59], s[10:11], v[76:77]
	v_fma_f64 v[18:19], v[60:61], s[10:11], v[78:79]
	;; [unrolled: 1-line block ×4, first 2 shown]
	v_fma_f64 v[64:65], v[80:81], 0.5, v[66:67]
	v_fma_f64 v[66:67], v[82:83], -0.5, v[88:89]
	v_fma_f64 v[72:73], v[80:81], s[10:11], v[84:85]
	v_fma_f64 v[74:75], v[82:83], s[10:11], v[46:47]
	v_add_f64_e32 v[76:77], v[26:27], v[10:11]
	v_add_f64_e32 v[78:79], v[24:25], v[0:1]
	v_add_f64_e64 v[40:41], v[52:53], -v[54:55]
	v_add_f64_e64 v[42:43], v[56:57], -v[62:63]
	v_add_f64_e64 v[80:81], v[26:27], -v[10:11]
	v_add_f64_e64 v[82:83], v[24:25], -v[0:1]
	v_add_f64_e32 v[84:85], v[2:3], v[12:13]
	v_add_f64_e32 v[88:89], v[4:5], v[14:15]
	;; [unrolled: 1-line block ×4, first 2 shown]
	v_add_f64_e64 v[92:93], v[2:3], -v[12:13]
	v_add_f64_e64 v[94:95], v[6:7], -v[16:17]
	;; [unrolled: 1-line block ×8, first 2 shown]
	ds_store_b128 v236, v[76:79]
	ds_store_b128 v236, v[84:87] offset:1440
	ds_store_b128 v236, v[88:91] offset:2880
	;; [unrolled: 1-line block ×5, first 2 shown]
	s_and_saveexec_b32 s1, s0
	s_cbranch_execz .LBB0_29
; %bb.28:
	v_add_f64_e32 v[56:57], v[56:57], v[62:63]
	v_add_f64_e32 v[54:55], v[52:53], v[54:55]
	;; [unrolled: 1-line block ×6, first 2 shown]
	v_and_b32_e32 v0, 0xffff, v237
	s_delay_alu instid0(VALU_DEP_1)
	v_lshlrev_b32_e32 v0, 4, v0
	ds_store_b128 v0, v[54:57]
	ds_store_b128 v0, v[72:75] offset:1440
	ds_store_b128 v0, v[68:71] offset:2880
	ds_store_b128 v0, v[40:43] offset:4320
	ds_store_b128 v0, v[44:47] offset:5760
	ds_store_b128 v0, v[48:51] offset:7200
.LBB0_29:
	s_wait_alu 0xfffe
	s_or_b32 exec_lo, exec_lo, s1
	global_wb scope:SCOPE_SE
	s_wait_dscnt 0x0
	s_barrier_signal -1
	s_barrier_wait -1
	global_inv scope:SCOPE_SE
	ds_load_b128 v[60:63], v226
	ds_load_b128 v[52:55], v226 offset:2592
	ds_load_b128 v[76:79], v226 offset:17280
	;; [unrolled: 1-line block ×8, first 2 shown]
	s_and_saveexec_b32 s0, vcc_lo
	s_cbranch_execz .LBB0_31
; %bb.30:
	ds_load_b128 v[40:43], v226 offset:7776
	ds_load_b128 v[44:47], v226 offset:16416
	;; [unrolled: 1-line block ×3, first 2 shown]
.LBB0_31:
	s_wait_alu 0xfffe
	s_or_b32 exec_lo, exec_lo, s0
	s_wait_dscnt 0x4
	v_mul_f64_e32 v[0:1], v[154:155], v[86:87]
	v_mul_f64_e32 v[2:3], v[158:159], v[78:79]
	;; [unrolled: 1-line block ×4, first 2 shown]
	s_wait_dscnt 0x2
	v_mul_f64_e32 v[8:9], v[162:163], v[82:83]
	v_mul_f64_e32 v[10:11], v[166:167], v[66:67]
	;; [unrolled: 1-line block ×4, first 2 shown]
	s_wait_dscnt 0x1
	v_mul_f64_e32 v[16:17], v[170:171], v[70:71]
	s_wait_dscnt 0x0
	v_mul_f64_e32 v[18:19], v[174:175], v[74:75]
	v_mul_f64_e32 v[20:21], v[170:171], v[68:69]
	;; [unrolled: 1-line block ×3, first 2 shown]
	s_mov_b32 s0, 0xe8584caa
	s_mov_b32 s1, 0xbfebb67a
	;; [unrolled: 1-line block ×3, first 2 shown]
	s_wait_alu 0xfffe
	s_mov_b32 s8, s0
	v_fma_f64 v[0:1], v[152:153], v[84:85], v[0:1]
	v_fma_f64 v[2:3], v[156:157], v[76:77], v[2:3]
	v_fma_f64 v[4:5], v[152:153], v[86:87], -v[4:5]
	v_fma_f64 v[6:7], v[156:157], v[78:79], -v[6:7]
	v_fma_f64 v[8:9], v[160:161], v[80:81], v[8:9]
	v_fma_f64 v[10:11], v[164:165], v[64:65], v[10:11]
	v_fma_f64 v[12:13], v[160:161], v[82:83], -v[12:13]
	v_fma_f64 v[14:15], v[164:165], v[66:67], -v[14:15]
	;; [unrolled: 4-line block ×3, first 2 shown]
	v_add_f64_e32 v[72:73], v[60:61], v[0:1]
	v_add_f64_e32 v[24:25], v[0:1], v[2:3]
	v_add_f64_e64 v[0:1], v[0:1], -v[2:3]
	v_add_f64_e32 v[26:27], v[4:5], v[6:7]
	v_add_f64_e64 v[74:75], v[4:5], -v[6:7]
	v_add_f64_e32 v[64:65], v[8:9], v[10:11]
	v_add_f64_e32 v[4:5], v[62:63], v[4:5]
	;; [unrolled: 1-line block ×7, first 2 shown]
	v_add_f64_e64 v[12:13], v[12:13], -v[14:15]
	v_add_f64_e64 v[8:9], v[8:9], -v[10:11]
	v_add_f64_e32 v[80:81], v[56:57], v[16:17]
	v_add_f64_e32 v[82:83], v[58:59], v[20:21]
	v_add_f64_e64 v[20:21], v[20:21], -v[22:23]
	v_add_f64_e64 v[16:17], v[16:17], -v[18:19]
	v_fma_f64 v[24:25], v[24:25], -0.5, v[60:61]
	v_fma_f64 v[26:27], v[26:27], -0.5, v[62:63]
	;; [unrolled: 1-line block ×3, first 2 shown]
	v_add_f64_e32 v[52:53], v[72:73], v[2:3]
	v_fma_f64 v[86:87], v[66:67], -0.5, v[54:55]
	v_add_f64_e32 v[54:55], v[4:5], v[6:7]
	v_fma_f64 v[88:89], v[68:69], -0.5, v[56:57]
	;; [unrolled: 2-line block ×3, first 2 shown]
	v_add_f64_e32 v[58:59], v[78:79], v[14:15]
	v_add_f64_e32 v[60:61], v[80:81], v[18:19]
	v_add_f64_e32 v[62:63], v[82:83], v[22:23]
	s_wait_alu 0xfffe
	v_fma_f64 v[68:69], v[74:75], s[8:9], v[24:25]
	v_fma_f64 v[64:65], v[74:75], s[0:1], v[24:25]
	;; [unrolled: 1-line block ×12, first 2 shown]
	ds_store_b128 v226, v[52:55]
	ds_store_b128 v226, v[56:59] offset:2592
	ds_store_b128 v226, v[68:71] offset:17280
	;; [unrolled: 1-line block ×8, first 2 shown]
	s_and_saveexec_b32 s10, vcc_lo
	s_cbranch_execz .LBB0_33
; %bb.32:
	v_mul_f64_e32 v[0:1], v[146:147], v[44:45]
	v_mul_f64_e32 v[2:3], v[150:151], v[48:49]
	;; [unrolled: 1-line block ×4, first 2 shown]
	s_delay_alu instid0(VALU_DEP_4) | instskip(NEXT) | instid1(VALU_DEP_4)
	v_fma_f64 v[0:1], v[144:145], v[46:47], -v[0:1]
	v_fma_f64 v[2:3], v[148:149], v[50:51], -v[2:3]
	s_delay_alu instid0(VALU_DEP_4) | instskip(NEXT) | instid1(VALU_DEP_4)
	v_fma_f64 v[4:5], v[144:145], v[44:45], v[4:5]
	v_fma_f64 v[6:7], v[148:149], v[48:49], v[6:7]
	s_delay_alu instid0(VALU_DEP_4) | instskip(NEXT) | instid1(VALU_DEP_4)
	v_add_f64_e32 v[14:15], v[42:43], v[0:1]
	v_add_f64_e32 v[8:9], v[0:1], v[2:3]
	v_add_f64_e64 v[0:1], v[0:1], -v[2:3]
	s_delay_alu instid0(VALU_DEP_4)
	v_add_f64_e32 v[10:11], v[4:5], v[6:7]
	v_add_f64_e64 v[12:13], v[4:5], -v[6:7]
	v_add_f64_e32 v[4:5], v[40:41], v[4:5]
	v_fma_f64 v[8:9], v[8:9], -0.5, v[42:43]
	v_add_f64_e32 v[42:43], v[14:15], v[2:3]
	v_fma_f64 v[10:11], v[10:11], -0.5, v[40:41]
	s_delay_alu instid0(VALU_DEP_4) | instskip(NEXT) | instid1(VALU_DEP_4)
	v_add_f64_e32 v[40:41], v[4:5], v[6:7]
	v_fma_f64 v[50:51], v[12:13], s[8:9], v[8:9]
	v_fma_f64 v[46:47], v[12:13], s[0:1], v[8:9]
	s_delay_alu instid0(VALU_DEP_4)
	v_fma_f64 v[48:49], v[0:1], s[0:1], v[10:11]
	v_fma_f64 v[44:45], v[0:1], s[8:9], v[10:11]
	ds_store_b128 v226, v[40:43] offset:7776
	ds_store_b128 v226, v[48:51] offset:16416
	;; [unrolled: 1-line block ×3, first 2 shown]
.LBB0_33:
	s_wait_alu 0xfffe
	s_or_b32 exec_lo, exec_lo, s10
	global_wb scope:SCOPE_SE
	s_wait_dscnt 0x0
	s_barrier_signal -1
	s_barrier_wait -1
	global_inv scope:SCOPE_SE
	ds_load_b128 v[40:43], v226
	ds_load_b128 v[44:47], v226 offset:2592
	ds_load_b128 v[48:51], v226 offset:5184
	;; [unrolled: 1-line block ×3, first 2 shown]
	scratch_load_b64 v[0:1], off, off th:TH_LOAD_LU ; 8-byte Folded Reload
	ds_load_b128 v[56:59], v226 offset:10368
	ds_load_b128 v[60:63], v226 offset:12960
	;; [unrolled: 1-line block ×6, first 2 shown]
	scratch_load_b128 v[93:96], off, off offset:8 th:TH_LOAD_LU ; 16-byte Folded Reload
	v_mad_co_u64_u32 v[2:3], null, s4, v225, 0
	s_mul_u64 s[0:1], s[4:5], 0xa20
	s_wait_dscnt 0x2
	v_mul_f64_e32 v[84:85], v[30:31], v[70:71]
	v_mul_f64_e32 v[30:31], v[30:31], v[68:69]
	s_wait_dscnt 0x1
	v_mul_f64_e32 v[86:87], v[34:35], v[74:75]
	v_mul_f64_e32 v[34:35], v[34:35], v[72:73]
	;; [unrolled: 3-line block ×3, first 2 shown]
	v_fma_f64 v[30:31], v[28:29], v[70:71], -v[30:31]
	s_delay_alu instid0(VALU_DEP_4) | instskip(NEXT) | instid1(VALU_DEP_3)
	v_fma_f64 v[34:35], v[32:33], v[74:75], -v[34:35]
	v_fma_f64 v[38:39], v[36:37], v[78:79], -v[38:39]
	s_wait_loadcnt 0x1
	v_mov_b32_e32 v90, v0
	s_wait_loadcnt 0x0
	v_mul_f64_e32 v[4:5], v[95:96], v[42:43]
	v_mul_f64_e32 v[6:7], v[95:96], v[40:41]
	scratch_load_b128 v[95:98], off, off offset:24 th:TH_LOAD_LU ; 16-byte Folded Reload
	v_mad_co_u64_u32 v[0:1], null, s6, v90, 0
	s_delay_alu instid0(VALU_DEP_1) | instskip(NEXT) | instid1(VALU_DEP_1)
	v_mad_co_u64_u32 v[90:91], null, s7, v90, v[1:2]
	v_mov_b32_e32 v1, v90
	s_delay_alu instid0(VALU_DEP_1) | instskip(NEXT) | instid1(VALU_DEP_1)
	v_lshlrev_b64_e32 v[0:1], 4, v[0:1]
	v_add_co_u32 v0, vcc_lo, s2, v0
	s_wait_alu 0xfffd
	s_delay_alu instid0(VALU_DEP_2)
	v_add_co_ci_u32_e32 v1, vcc_lo, s3, v1, vcc_lo
	s_mov_b32 s2, 0x30abee4d
	s_mov_b32 s3, 0x3f443a27
	s_wait_alu 0xfffe
	v_mul_f64_e32 v[30:31], s[2:3], v[30:31]
	v_mad_co_u64_u32 v[91:92], null, s5, v225, v[3:4]
	v_fma_f64 v[4:5], v[93:94], v[40:41], v[4:5]
	v_fma_f64 v[6:7], v[93:94], v[42:43], -v[6:7]
	v_mul_f64_e32 v[34:35], s[2:3], v[34:35]
	v_mul_f64_e32 v[38:39], s[2:3], v[38:39]
	v_mov_b32_e32 v3, v91
	s_delay_alu instid0(VALU_DEP_1)
	v_lshlrev_b64_e32 v[2:3], 4, v[2:3]
	s_wait_loadcnt 0x0
	v_mul_f64_e32 v[8:9], v[97:98], v[46:47]
	v_mul_f64_e32 v[10:11], v[97:98], v[44:45]
	scratch_load_b128 v[97:100], off, off offset:40 th:TH_LOAD_LU ; 16-byte Folded Reload
	v_fma_f64 v[8:9], v[95:96], v[44:45], v[8:9]
	v_fma_f64 v[10:11], v[95:96], v[46:47], -v[10:11]
	v_fma_f64 v[44:45], v[28:29], v[68:69], v[84:85]
	v_fma_f64 v[46:47], v[32:33], v[72:73], v[86:87]
	s_delay_alu instid0(VALU_DEP_2) | instskip(NEXT) | instid1(VALU_DEP_2)
	v_mul_f64_e32 v[28:29], s[2:3], v[44:45]
	v_mul_f64_e32 v[32:33], s[2:3], v[46:47]
	s_wait_loadcnt 0x0
	v_mul_f64_e32 v[12:13], v[99:100], v[50:51]
	v_mul_f64_e32 v[14:15], v[99:100], v[48:49]
	scratch_load_b128 v[99:102], off, off offset:56 th:TH_LOAD_LU ; 16-byte Folded Reload
	v_fma_f64 v[12:13], v[97:98], v[48:49], v[12:13]
	v_fma_f64 v[14:15], v[97:98], v[50:51], -v[14:15]
	v_fma_f64 v[48:49], v[36:37], v[76:77], v[88:89]
	v_add_co_u32 v50, vcc_lo, v0, v2
	s_wait_alu 0xfffd
	v_add_co_ci_u32_e32 v51, vcc_lo, v1, v3, vcc_lo
	v_mul_f64_e32 v[0:1], s[2:3], v[4:5]
	v_mul_f64_e32 v[2:3], s[2:3], v[6:7]
	;; [unrolled: 1-line block ×7, first 2 shown]
	s_wait_loadcnt 0x0
	v_mul_f64_e32 v[16:17], v[101:102], v[54:55]
	v_mul_f64_e32 v[18:19], v[101:102], v[52:53]
	scratch_load_b128 v[101:104], off, off offset:72 th:TH_LOAD_LU ; 16-byte Folded Reload
	v_fma_f64 v[16:17], v[99:100], v[52:53], v[16:17]
	v_fma_f64 v[18:19], v[99:100], v[54:55], -v[18:19]
	v_add_co_u32 v52, vcc_lo, v50, s0
	s_wait_alu 0xfffd
	v_add_co_ci_u32_e32 v53, vcc_lo, s1, v51, vcc_lo
	s_delay_alu instid0(VALU_DEP_2) | instskip(SKIP_1) | instid1(VALU_DEP_2)
	v_add_co_u32 v54, vcc_lo, v52, s0
	s_wait_alu 0xfffd
	v_add_co_ci_u32_e32 v55, vcc_lo, s1, v53, vcc_lo
	v_mul_f64_e32 v[12:13], s[2:3], v[16:17]
	v_mul_f64_e32 v[14:15], s[2:3], v[18:19]
	s_wait_loadcnt 0x0
	v_mul_f64_e32 v[20:21], v[103:104], v[58:59]
	v_mul_f64_e32 v[22:23], v[103:104], v[56:57]
	scratch_load_b128 v[103:106], off, off offset:88 th:TH_LOAD_LU ; 16-byte Folded Reload
	v_fma_f64 v[20:21], v[101:102], v[56:57], v[20:21]
	v_fma_f64 v[22:23], v[101:102], v[58:59], -v[22:23]
	s_delay_alu instid0(VALU_DEP_2) | instskip(NEXT) | instid1(VALU_DEP_2)
	v_mul_f64_e32 v[16:17], s[2:3], v[20:21]
	v_mul_f64_e32 v[18:19], s[2:3], v[22:23]
	s_wait_loadcnt 0x0
	v_mul_f64_e32 v[24:25], v[105:106], v[62:63]
	v_mul_f64_e32 v[26:27], v[105:106], v[60:61]
	scratch_load_b128 v[105:108], off, off offset:104 th:TH_LOAD_LU ; 16-byte Folded Reload
	v_fma_f64 v[24:25], v[103:104], v[60:61], v[24:25]
	v_fma_f64 v[26:27], v[103:104], v[62:63], -v[26:27]
	s_delay_alu instid0(VALU_DEP_2) | instskip(NEXT) | instid1(VALU_DEP_2)
	v_mul_f64_e32 v[20:21], s[2:3], v[24:25]
	v_mul_f64_e32 v[22:23], s[2:3], v[26:27]
	s_wait_loadcnt 0x0
	v_mul_f64_e32 v[80:81], v[107:108], v[66:67]
	v_mul_f64_e32 v[82:83], v[107:108], v[64:65]
	s_delay_alu instid0(VALU_DEP_2) | instskip(NEXT) | instid1(VALU_DEP_2)
	v_fma_f64 v[40:41], v[105:106], v[64:65], v[80:81]
	v_fma_f64 v[42:43], v[105:106], v[66:67], -v[82:83]
	s_delay_alu instid0(VALU_DEP_2) | instskip(NEXT) | instid1(VALU_DEP_2)
	v_mul_f64_e32 v[24:25], s[2:3], v[40:41]
	v_mul_f64_e32 v[26:27], s[2:3], v[42:43]
	v_add_co_u32 v40, vcc_lo, v54, s0
	s_wait_alu 0xfffd
	v_add_co_ci_u32_e32 v41, vcc_lo, s1, v55, vcc_lo
	s_clause 0x3
	global_store_b128 v[50:51], v[0:3], off
	global_store_b128 v[52:53], v[4:7], off
	;; [unrolled: 1-line block ×4, first 2 shown]
	v_add_co_u32 v42, vcc_lo, v40, s0
	s_wait_alu 0xfffd
	v_add_co_ci_u32_e32 v43, vcc_lo, s1, v41, vcc_lo
	s_delay_alu instid0(VALU_DEP_2) | instskip(SKIP_1) | instid1(VALU_DEP_2)
	v_add_co_u32 v44, vcc_lo, v42, s0
	s_wait_alu 0xfffd
	v_add_co_ci_u32_e32 v45, vcc_lo, s1, v43, vcc_lo
	global_store_b128 v[42:43], v[16:19], off
	v_add_co_u32 v46, vcc_lo, v44, s0
	s_wait_alu 0xfffd
	v_add_co_ci_u32_e32 v47, vcc_lo, s1, v45, vcc_lo
	s_delay_alu instid0(VALU_DEP_2) | instskip(SKIP_1) | instid1(VALU_DEP_2)
	v_add_co_u32 v48, vcc_lo, v46, s0
	s_wait_alu 0xfffd
	v_add_co_ci_u32_e32 v49, vcc_lo, s1, v47, vcc_lo
	s_delay_alu instid0(VALU_DEP_2) | instskip(SKIP_1) | instid1(VALU_DEP_2)
	;; [unrolled: 4-line block ×3, first 2 shown]
	v_add_co_u32 v2, vcc_lo, v0, s0
	s_wait_alu 0xfffd
	v_add_co_ci_u32_e32 v3, vcc_lo, s1, v1, vcc_lo
	global_store_b128 v[44:45], v[20:23], off
	global_store_b128 v[46:47], v[24:27], off
	global_store_b128 v[48:49], v[28:31], off
	global_store_b128 v[0:1], v[32:35], off
	global_store_b128 v[2:3], v[36:39], off
.LBB0_34:
	s_nop 0
	s_sendmsg sendmsg(MSG_DEALLOC_VGPRS)
	s_endpgm
	.section	.rodata,"a",@progbits
	.p2align	6, 0x0
	.amdhsa_kernel bluestein_single_fwd_len1620_dim1_dp_op_CI_CI
		.amdhsa_group_segment_fixed_size 25920
		.amdhsa_private_segment_fixed_size 156
		.amdhsa_kernarg_size 104
		.amdhsa_user_sgpr_count 2
		.amdhsa_user_sgpr_dispatch_ptr 0
		.amdhsa_user_sgpr_queue_ptr 0
		.amdhsa_user_sgpr_kernarg_segment_ptr 1
		.amdhsa_user_sgpr_dispatch_id 0
		.amdhsa_user_sgpr_private_segment_size 0
		.amdhsa_wavefront_size32 1
		.amdhsa_uses_dynamic_stack 0
		.amdhsa_enable_private_segment 1
		.amdhsa_system_sgpr_workgroup_id_x 1
		.amdhsa_system_sgpr_workgroup_id_y 0
		.amdhsa_system_sgpr_workgroup_id_z 0
		.amdhsa_system_sgpr_workgroup_info 0
		.amdhsa_system_vgpr_workitem_id 0
		.amdhsa_next_free_vgpr 256
		.amdhsa_next_free_sgpr 22
		.amdhsa_reserve_vcc 1
		.amdhsa_float_round_mode_32 0
		.amdhsa_float_round_mode_16_64 0
		.amdhsa_float_denorm_mode_32 3
		.amdhsa_float_denorm_mode_16_64 3
		.amdhsa_fp16_overflow 0
		.amdhsa_workgroup_processor_mode 1
		.amdhsa_memory_ordered 1
		.amdhsa_forward_progress 0
		.amdhsa_round_robin_scheduling 0
		.amdhsa_exception_fp_ieee_invalid_op 0
		.amdhsa_exception_fp_denorm_src 0
		.amdhsa_exception_fp_ieee_div_zero 0
		.amdhsa_exception_fp_ieee_overflow 0
		.amdhsa_exception_fp_ieee_underflow 0
		.amdhsa_exception_fp_ieee_inexact 0
		.amdhsa_exception_int_div_zero 0
	.end_amdhsa_kernel
	.text
.Lfunc_end0:
	.size	bluestein_single_fwd_len1620_dim1_dp_op_CI_CI, .Lfunc_end0-bluestein_single_fwd_len1620_dim1_dp_op_CI_CI
                                        ; -- End function
	.section	.AMDGPU.csdata,"",@progbits
; Kernel info:
; codeLenInByte = 15136
; NumSgprs: 24
; NumVgprs: 256
; ScratchSize: 156
; MemoryBound: 0
; FloatMode: 240
; IeeeMode: 1
; LDSByteSize: 25920 bytes/workgroup (compile time only)
; SGPRBlocks: 2
; VGPRBlocks: 31
; NumSGPRsForWavesPerEU: 24
; NumVGPRsForWavesPerEU: 256
; Occupancy: 5
; WaveLimiterHint : 1
; COMPUTE_PGM_RSRC2:SCRATCH_EN: 1
; COMPUTE_PGM_RSRC2:USER_SGPR: 2
; COMPUTE_PGM_RSRC2:TRAP_HANDLER: 0
; COMPUTE_PGM_RSRC2:TGID_X_EN: 1
; COMPUTE_PGM_RSRC2:TGID_Y_EN: 0
; COMPUTE_PGM_RSRC2:TGID_Z_EN: 0
; COMPUTE_PGM_RSRC2:TIDIG_COMP_CNT: 0
	.text
	.p2alignl 7, 3214868480
	.fill 96, 4, 3214868480
	.type	__hip_cuid_15d5f296115b1ae0,@object ; @__hip_cuid_15d5f296115b1ae0
	.section	.bss,"aw",@nobits
	.globl	__hip_cuid_15d5f296115b1ae0
__hip_cuid_15d5f296115b1ae0:
	.byte	0                               ; 0x0
	.size	__hip_cuid_15d5f296115b1ae0, 1

	.ident	"AMD clang version 19.0.0git (https://github.com/RadeonOpenCompute/llvm-project roc-6.4.0 25133 c7fe45cf4b819c5991fe208aaa96edf142730f1d)"
	.section	".note.GNU-stack","",@progbits
	.addrsig
	.addrsig_sym __hip_cuid_15d5f296115b1ae0
	.amdgpu_metadata
---
amdhsa.kernels:
  - .args:
      - .actual_access:  read_only
        .address_space:  global
        .offset:         0
        .size:           8
        .value_kind:     global_buffer
      - .actual_access:  read_only
        .address_space:  global
        .offset:         8
        .size:           8
        .value_kind:     global_buffer
      - .actual_access:  read_only
        .address_space:  global
        .offset:         16
        .size:           8
        .value_kind:     global_buffer
      - .actual_access:  read_only
        .address_space:  global
        .offset:         24
        .size:           8
        .value_kind:     global_buffer
      - .actual_access:  read_only
        .address_space:  global
        .offset:         32
        .size:           8
        .value_kind:     global_buffer
      - .offset:         40
        .size:           8
        .value_kind:     by_value
      - .address_space:  global
        .offset:         48
        .size:           8
        .value_kind:     global_buffer
      - .address_space:  global
        .offset:         56
        .size:           8
        .value_kind:     global_buffer
      - .address_space:  global
        .offset:         64
        .size:           8
        .value_kind:     global_buffer
      - .address_space:  global
        .offset:         72
        .size:           8
        .value_kind:     global_buffer
      - .offset:         80
        .size:           4
        .value_kind:     by_value
      - .address_space:  global
        .offset:         88
        .size:           8
        .value_kind:     global_buffer
      - .address_space:  global
        .offset:         96
        .size:           8
        .value_kind:     global_buffer
    .group_segment_fixed_size: 25920
    .kernarg_segment_align: 8
    .kernarg_segment_size: 104
    .language:       OpenCL C
    .language_version:
      - 2
      - 0
    .max_flat_workgroup_size: 162
    .name:           bluestein_single_fwd_len1620_dim1_dp_op_CI_CI
    .private_segment_fixed_size: 156
    .sgpr_count:     24
    .sgpr_spill_count: 0
    .symbol:         bluestein_single_fwd_len1620_dim1_dp_op_CI_CI.kd
    .uniform_work_group_size: 1
    .uses_dynamic_stack: false
    .vgpr_count:     256
    .vgpr_spill_count: 38
    .wavefront_size: 32
    .workgroup_processor_mode: 1
amdhsa.target:   amdgcn-amd-amdhsa--gfx1201
amdhsa.version:
  - 1
  - 2
...

	.end_amdgpu_metadata
